;; amdgpu-corpus repo=ROCm/rocFFT kind=compiled arch=gfx950 opt=O3
	.text
	.amdgcn_target "amdgcn-amd-amdhsa--gfx950"
	.amdhsa_code_object_version 6
	.protected	bluestein_single_back_len1728_dim1_sp_op_CI_CI ; -- Begin function bluestein_single_back_len1728_dim1_sp_op_CI_CI
	.globl	bluestein_single_back_len1728_dim1_sp_op_CI_CI
	.p2align	8
	.type	bluestein_single_back_len1728_dim1_sp_op_CI_CI,@function
bluestein_single_back_len1728_dim1_sp_op_CI_CI: ; @bluestein_single_back_len1728_dim1_sp_op_CI_CI
; %bb.0:
	s_load_dwordx4 s[8:11], s[0:1], 0x28
	v_mul_u32_u24_e32 v1, 0x25f, v0
	v_mov_b32_e32 v127, 0
	v_add_u32_sdwa v136, s2, v1 dst_sel:DWORD dst_unused:UNUSED_PAD src0_sel:DWORD src1_sel:WORD_1
	v_mov_b32_e32 v137, v127
	s_waitcnt lgkmcnt(0)
	v_cmp_gt_u64_e32 vcc, s[8:9], v[136:137]
	s_and_saveexec_b64 s[2:3], vcc
	s_cbranch_execz .LBB0_33
; %bb.1:
	s_load_dwordx4 s[4:7], s[0:1], 0x18
	s_load_dwordx2 s[14:15], s[0:1], 0x0
	v_mov_b32_e32 v2, s10
	v_mov_b32_e32 v3, s11
	s_movk_i32 s2, 0x6c
	s_waitcnt lgkmcnt(0)
	s_load_dwordx4 s[8:11], s[4:5], 0x0
	v_mul_lo_u16_sdwa v1, v1, s2 dst_sel:DWORD dst_unused:UNUSED_PAD src0_sel:WORD_1 src1_sel:DWORD
	v_sub_u16_e32 v126, v0, v1
	v_lshlrev_b32_e32 v108, 3, v126
	v_mov_b32_e32 v109, v127
	s_waitcnt lgkmcnt(0)
	v_mad_u64_u32 v[0:1], s[2:3], s10, v136, 0
	v_mov_b32_e32 v4, v1
	v_mad_u64_u32 v[4:5], s[2:3], s11, v136, v[4:5]
	v_mov_b32_e32 v1, v4
	v_mad_u64_u32 v[4:5], s[2:3], s8, v126, 0
	v_mov_b32_e32 v6, v5
	v_mad_u64_u32 v[6:7], s[2:3], s9, v126, v[6:7]
	s_mul_i32 s2, s9, 0x240
	s_mul_hi_u32 s3, s8, 0x240
	v_mov_b32_e32 v5, v6
	v_lshl_add_u64 v[0:1], v[0:1], 3, v[2:3]
	s_add_i32 s3, s3, s2
	s_mul_i32 s2, s8, 0x240
	v_lshl_add_u64 v[2:3], v[4:5], 3, v[0:1]
	v_lshl_add_u64 v[110:111], s[14:15], 0, v[108:109]
	s_lshl_b64 s[2:3], s[2:3], 3
	s_movk_i32 s4, 0x1000
	v_or_b32_e32 v109, 0x480, v126
	v_lshl_add_u64 v[4:5], v[2:3], 0, s[2:3]
	global_load_dwordx2 v[6:7], v[2:3], off
	global_load_dwordx2 v[8:9], v[4:5], off
	v_add_co_u32_e32 v2, vcc, s4, v110
	v_mad_u64_u32 v[10:11], s[4:5], s8, v109, 0
	v_mov_b32_e32 v12, v11
	v_mad_u64_u32 v[12:13], s[4:5], s9, v109, v[12:13]
	v_mov_b32_e32 v11, v12
	v_lshlrev_b32_e32 v92, 3, v109
	v_lshl_add_u64 v[0:1], v[10:11], 3, v[0:1]
	global_load_dwordx2 v[140:141], v92, s[14:15]
	global_load_dwordx2 v[144:145], v108, s[14:15]
	v_addc_co_u32_e32 v3, vcc, 0, v111, vcc
	global_load_dwordx2 v[10:11], v[0:1], off
	v_mov_b32_e32 v0, 0xfffff160
	global_load_dwordx2 v[142:143], v[2:3], off offset:512
	v_mad_u64_u32 v[0:1], s[4:5], s8, v0, v[4:5]
	s_mul_i32 s4, s9, 0xfffff160
	s_sub_i32 s4, s4, s8
	v_add_u32_e32 v1, s4, v1
	global_load_dwordx2 v[4:5], v[0:1], off
	global_load_dwordx2 v[138:139], v108, s[14:15] offset:864
	v_lshl_add_u64 v[0:1], v[0:1], 0, s[2:3]
	s_movk_i32 s4, 0x2000
	s_mul_hi_u32 s5, s8, 0xfffffbec
	global_load_dwordx2 v[132:133], v[2:3], off offset:1376
	v_lshl_add_u64 v[12:13], v[0:1], 0, s[2:3]
	global_load_dwordx2 v[14:15], v[0:1], off
	global_load_dwordx2 v[16:17], v[12:13], off
	v_add_co_u32_e32 v0, vcc, s4, v110
	s_mul_i32 s4, s9, 0xfffffbec
	s_sub_i32 s5, s5, s8
	s_add_i32 s5, s5, s4
	s_mul_i32 s4, s8, 0xfffffbec
	v_addc_co_u32_e32 v1, vcc, 0, v111, vcc
	s_lshl_b64 s[8:9], s[4:5], 3
	global_load_dwordx2 v[134:135], v[0:1], off offset:1888
	v_lshl_add_u64 v[12:13], v[12:13], 0, s[8:9]
	global_load_dwordx2 v[18:19], v[12:13], off
	global_load_dwordx2 v[130:131], v108, s[14:15] offset:1728
	v_lshl_add_u64 v[12:13], v[12:13], 0, s[2:3]
	global_load_dwordx2 v[20:21], v[12:13], off
	global_load_dwordx2 v[128:129], v[2:3], off offset:2240
	v_lshl_add_u64 v[12:13], v[12:13], 0, s[2:3]
	global_load_dwordx2 v[22:23], v[12:13], off
	global_load_dwordx2 v[124:125], v[0:1], off offset:2752
	v_lshl_add_u64 v[12:13], v[12:13], 0, s[8:9]
	global_load_dwordx2 v[24:25], v[12:13], off
	global_load_dwordx2 v[122:123], v108, s[14:15] offset:2592
	v_lshl_add_u64 v[12:13], v[12:13], 0, s[2:3]
	global_load_dwordx2 v[26:27], v[12:13], off
	global_load_dwordx2 v[120:121], v[2:3], off offset:3104
	v_lshl_add_u64 v[12:13], v[12:13], 0, s[2:3]
	global_load_dwordx2 v[28:29], v[12:13], off
	global_load_dwordx2 v[118:119], v[0:1], off offset:3616
	v_lshl_add_u64 v[12:13], v[12:13], 0, s[8:9]
	global_load_dwordx2 v[30:31], v[12:13], off
	global_load_dwordx2 v[116:117], v108, s[14:15] offset:3456
	v_lshl_add_u64 v[12:13], v[12:13], 0, s[2:3]
	s_movk_i32 s8, 0x3000
	global_load_dwordx2 v[32:33], v[12:13], off
	global_load_dwordx2 v[114:115], v[2:3], off offset:3968
	v_add_co_u32_e32 v34, vcc, s8, v110
	v_lshl_add_u64 v[2:3], v[12:13], 0, s[2:3]
	s_nop 0
	v_addc_co_u32_e32 v35, vcc, 0, v111, vcc
	global_load_dwordx2 v[12:13], v[2:3], off
	global_load_dwordx2 v[112:113], v[34:35], off offset:384
	s_load_dwordx2 s[12:13], s[0:1], 0x38
	s_load_dwordx4 s[8:11], s[6:7], 0x0
	v_cmp_gt_u16_e64 s[6:7], 36, v126
	s_waitcnt vmcnt(26)
	v_mul_f32_e32 v34, v6, v145
	v_fma_f32 v35, v7, v144, -v34
	v_mul_f32_e32 v34, v7, v145
	v_fmac_f32_e32 v34, v6, v144
	s_waitcnt vmcnt(24)
	v_mul_f32_e32 v6, v8, v143
	v_fma_f32 v7, v9, v142, -v6
	v_mul_f32_e32 v6, v9, v143
	v_fmac_f32_e32 v6, v8, v142
	ds_write_b64 v108, v[6:7] offset:4608
	v_mul_f32_e32 v6, v11, v141
	v_mul_f32_e32 v7, v10, v141
	v_fmac_f32_e32 v6, v10, v140
	v_fma_f32 v7, v11, v140, -v7
	ds_write_b64 v108, v[6:7] offset:9216
	s_waitcnt vmcnt(22)
	v_mul_f32_e32 v6, v5, v139
	v_fmac_f32_e32 v6, v4, v138
	v_mul_f32_e32 v4, v4, v139
	v_fma_f32 v7, v5, v138, -v4
	s_waitcnt vmcnt(20)
	v_mul_f32_e32 v4, v14, v133
	ds_write2_b64 v108, v[34:35], v[6:7] offset1:108
	v_fma_f32 v7, v15, v132, -v4
	v_mul_f32_e32 v6, v15, v133
	v_fmac_f32_e32 v6, v14, v132
	s_waitcnt vmcnt(18)
	v_mul_f32_e32 v4, v16, v135
	v_fma_f32 v9, v17, v134, -v4
	s_waitcnt vmcnt(16)
	v_mul_f32_e32 v4, v18, v131
	v_fma_f32 v11, v19, v130, -v4
	s_waitcnt vmcnt(14)
	v_mul_f32_e32 v14, v21, v129
	v_mul_f32_e32 v4, v20, v129
	v_fmac_f32_e32 v14, v20, v128
	v_fma_f32 v15, v21, v128, -v4
	v_add_u32_e32 v4, 0x1400, v108
	v_mul_f32_e32 v8, v17, v135
	ds_write2_b64 v4, v[6:7], v[14:15] offset0:44 offset1:152
	s_waitcnt vmcnt(12)
	v_mul_f32_e32 v6, v23, v125
	v_mul_f32_e32 v5, v22, v125
	v_fmac_f32_e32 v8, v16, v134
	v_fmac_f32_e32 v6, v22, v124
	v_fma_f32 v7, v23, v124, -v5
	v_add_u32_e32 v5, 0x2400, v108
	v_mul_f32_e32 v10, v19, v131
	ds_write2_b64 v5, v[8:9], v[6:7] offset0:108 offset1:216
	s_waitcnt vmcnt(10)
	v_mul_f32_e32 v6, v25, v123
	v_mul_f32_e32 v5, v24, v123
	v_fmac_f32_e32 v10, v18, v130
	v_fmac_f32_e32 v6, v24, v122
	v_fma_f32 v7, v25, v122, -v5
	v_add_u32_e32 v5, 0x400, v108
	s_waitcnt vmcnt(6)
	v_mul_f32_e32 v8, v28, v119
	ds_write2_b64 v5, v[10:11], v[6:7] offset0:88 offset1:196
	v_fma_f32 v11, v29, v118, -v8
	s_waitcnt vmcnt(4)
	v_mul_f32_e32 v8, v31, v117
	v_mul_f32_e32 v9, v30, v117
	v_fmac_f32_e32 v8, v30, v116
	v_fma_f32 v9, v31, v116, -v9
	v_mul_f32_e32 v6, v27, v121
	v_mul_f32_e32 v7, v26, v121
	ds_write_b64 v108, v[8:9] offset:3456
	s_waitcnt vmcnt(2)
	v_mul_f32_e32 v14, v33, v115
	v_mul_f32_e32 v8, v32, v115
	v_fmac_f32_e32 v6, v26, v120
	v_fma_f32 v7, v27, v120, -v7
	v_fmac_f32_e32 v14, v32, v114
	v_fma_f32 v15, v33, v114, -v8
	v_add_u32_e32 v8, 0x1800, v108
	v_mul_f32_e32 v10, v29, v119
	ds_write2_b64 v8, v[6:7], v[14:15] offset0:132 offset1:240
	s_waitcnt vmcnt(0)
	v_mul_f32_e32 v6, v13, v113
	v_mul_f32_e32 v7, v12, v113
	v_fmac_f32_e32 v10, v28, v118
	v_fmac_f32_e32 v6, v12, v112
	v_fma_f32 v7, v13, v112, -v7
	v_add_u32_e32 v9, 0x2c00, v108
	ds_write2_b64 v9, v[10:11], v[6:7] offset0:68 offset1:176
	s_and_saveexec_b64 s[16:17], s[6:7]
	s_cbranch_execz .LBB0_3
; %bb.2:
	v_lshl_add_u64 v[2:3], s[4:5], 3, v[2:3]
	v_add_co_u32_e32 v10, vcc, 0x1000, v110
	global_load_dwordx2 v[6:7], v[2:3], off
	s_nop 0
	v_addc_co_u32_e32 v11, vcc, 0, v111, vcc
	v_lshl_add_u64 v[2:3], v[2:3], 0, s[2:3]
	global_load_dwordx2 v[10:11], v[10:11], off offset:224
	s_nop 0
	global_load_dwordx2 v[12:13], v[2:3], off
	global_load_dwordx2 v[14:15], v[0:1], off offset:736
	v_lshl_add_u64 v[0:1], v[2:3], 0, s[2:3]
	v_add_co_u32_e32 v2, vcc, 0x3000, v110
	global_load_dwordx2 v[0:1], v[0:1], off
	s_nop 0
	v_addc_co_u32_e32 v3, vcc, 0, v111, vcc
	global_load_dwordx2 v[2:3], v[2:3], off offset:1248
	v_add_u32_e32 v9, 0xe0, v108
	s_waitcnt vmcnt(4)
	v_mul_f32_e32 v16, v7, v11
	v_mul_f32_e32 v11, v6, v11
	s_waitcnt vmcnt(2)
	v_mul_f32_e32 v18, v13, v15
	v_mul_f32_e32 v15, v12, v15
	v_fmac_f32_e32 v16, v6, v10
	v_fma_f32 v17, v7, v10, -v11
	v_fmac_f32_e32 v18, v12, v14
	v_fma_f32 v19, v13, v14, -v15
	s_waitcnt vmcnt(0)
	v_mul_f32_e32 v6, v1, v3
	v_mul_f32_e32 v3, v0, v3
	v_fmac_f32_e32 v6, v0, v2
	v_fma_f32 v7, v1, v2, -v3
	ds_write2st64_b64 v9, v[16:17], v[18:19] offset0:8 offset1:17
	ds_write_b64 v108, v[6:7] offset:13536
.LBB0_3:
	s_or_b64 exec, exec, s[16:17]
	v_add_u32_e32 v0, 0xc00, v108
	s_waitcnt lgkmcnt(0)
	s_barrier
	ds_read2_b64 v[24:27], v0 offset0:48 offset1:192
	v_add_u32_e32 v0, 0x2000, v108
	ds_read2_b64 v[16:19], v108 offset1:108
	ds_read2_b64 v[20:23], v0 offset0:128 offset1:236
	ds_read2_b64 v[12:15], v4 offset0:44 offset1:152
	;; [unrolled: 1-line block ×3, first 2 shown]
	v_add_u32_e32 v4, 0x2800, v108
	ds_read2_b64 v[4:7], v4 offset0:88 offset1:196
	ds_read2_b64 v[8:11], v8 offset0:132 offset1:240
	ds_read_b64 v[34:35], v108 offset:12672
                                        ; implicit-def: $vgpr28
                                        ; implicit-def: $vgpr32
	s_and_saveexec_b64 s[2:3], s[6:7]
	s_cbranch_execz .LBB0_5
; %bb.4:
	v_add_u32_e32 v28, 0xe0, v108
	ds_read2st64_b64 v[28:31], v28 offset0:8 offset1:17
	ds_read_b64 v[32:33], v108 offset:13536
.LBB0_5:
	s_or_b64 exec, exec, s[2:3]
	s_mov_b64 s[2:3], 0x6c
	v_lshl_add_u64 v[52:53], v[126:127], 0, s[2:3]
	s_mov_b64 s[2:3], 0xd8
	v_lshl_add_u64 v[54:55], v[126:127], 0, s[2:3]
	s_mov_b64 s[2:3], 0x21c
	v_lshl_add_u64 v[36:37], v[126:127], 0, s[2:3]
	s_waitcnt lgkmcnt(0)
	v_pk_add_f32 v[46:47], v[10:11], v[34:35]
	v_pk_add_f32 v[50:51], v[10:11], v[34:35] neg_lo:[0,1] neg_hi:[0,1]
	v_pk_add_f32 v[10:11], v[24:25], v[10:11]
	s_mov_b32 s2, 0x3f5db3d7
	v_pk_add_f32 v[48:49], v[10:11], v[34:35]
	v_pk_fma_f32 v[10:11], v[46:47], 0.5, v[24:25] op_sel_hi:[1,0,1] neg_lo:[1,0,0] neg_hi:[1,0,0]
	v_pk_mul_f32 v[24:25], v[50:51], s[2:3] op_sel_hi:[1,0]
	v_pk_add_f32 v[38:39], v[16:17], v[26:27]
	v_pk_add_f32 v[50:51], v[10:11], v[24:25] op_sel:[0,1] op_sel_hi:[1,0] neg_lo:[0,1] neg_hi:[0,1]
	v_pk_add_f32 v[62:63], v[24:25], v[10:11] op_sel:[1,0] op_sel_hi:[0,1]
	v_pk_add_f32 v[10:11], v[28:29], v[30:31]
	v_pk_add_f32 v[24:25], v[30:31], v[32:33] neg_lo:[0,1] neg_hi:[0,1]
	v_pk_add_f32 v[56:57], v[10:11], v[32:33]
	v_pk_add_f32 v[10:11], v[30:31], v[32:33]
	v_pk_mul_f32 v[24:25], v[24:25], s[2:3] op_sel_hi:[1,0]
	v_pk_fma_f32 v[10:11], v[10:11], 0.5, v[28:29] op_sel_hi:[1,0,1] neg_lo:[1,0,0] neg_hi:[1,0,0]
	v_pk_add_f32 v[40:41], v[18:19], v[12:13]
	v_pk_add_f32 v[58:59], v[10:11], v[24:25] op_sel:[0,1] op_sel_hi:[1,0] neg_lo:[0,1] neg_hi:[0,1]
	v_pk_add_f32 v[60:61], v[10:11], v[24:25] op_sel:[0,1] op_sel_hi:[1,0]
	v_mul_lo_u16_e32 v10, 3, v126
	v_lshlrev_b32_e32 v167, 3, v10
	v_pk_add_f32 v[10:11], v[38:39], v[20:21]
	v_pk_add_f32 v[24:25], v[26:27], v[20:21]
	v_pk_add_f32 v[20:21], v[26:27], v[20:21] neg_lo:[0,1] neg_hi:[0,1]
	v_pk_fma_f32 v[16:17], v[24:25], 0.5, v[16:17] op_sel_hi:[1,0,1] neg_lo:[1,0,0] neg_hi:[1,0,0]
	v_pk_mul_f32 v[20:21], v[20:21], s[2:3] op_sel_hi:[1,0]
	s_nop 0
	v_pk_add_f32 v[24:25], v[16:17], v[20:21] op_sel:[0,1] op_sel_hi:[1,0]
	v_pk_add_f32 v[16:17], v[16:17], v[20:21] op_sel:[0,1] op_sel_hi:[1,0] neg_lo:[0,1] neg_hi:[0,1]
	s_barrier
	v_mov_b32_e32 v21, v17
	v_mov_b32_e32 v17, v25
	ds_write_b64 v167, v[16:17] offset:16
	v_pk_add_f32 v[16:17], v[12:13], v[22:23]
	v_pk_add_f32 v[12:13], v[12:13], v[22:23] neg_lo:[0,1] neg_hi:[0,1]
	v_mov_b32_e32 v20, v24
	v_pk_fma_f32 v[16:17], v[16:17], 0.5, v[18:19] op_sel_hi:[1,0,1] neg_lo:[1,0,0] neg_hi:[1,0,0]
	v_pk_mul_f32 v[12:13], v[12:13], s[2:3] op_sel_hi:[1,0]
	ds_write2_b64 v167, v[10:11], v[20:21] offset1:1
	v_mul_u32_u24_e32 v10, 3, v52
	v_pk_add_f32 v[18:19], v[16:17], v[12:13] op_sel:[0,1] op_sel_hi:[1,0]
	v_pk_add_f32 v[12:13], v[16:17], v[12:13] op_sel:[0,1] op_sel_hi:[1,0] neg_lo:[0,1] neg_hi:[0,1]
	v_lshlrev_b32_e32 v169, 3, v10
	v_pk_add_f32 v[10:11], v[40:41], v[22:23]
	v_mov_b32_e32 v16, v18
	v_mov_b32_e32 v17, v13
	v_pk_add_f32 v[42:43], v[0:1], v[14:15]
	ds_write2_b64 v169, v[10:11], v[16:17] offset1:1
	v_mov_b32_e32 v13, v19
	v_mul_u32_u24_e32 v10, 3, v54
	ds_write_b64 v169, v[12:13] offset:16
	v_lshlrev_b32_e32 v171, 3, v10
	v_pk_add_f32 v[10:11], v[42:43], v[4:5]
	v_pk_add_f32 v[12:13], v[14:15], v[4:5]
	v_pk_add_f32 v[4:5], v[14:15], v[4:5] neg_lo:[0,1] neg_hi:[0,1]
	v_pk_fma_f32 v[0:1], v[12:13], 0.5, v[0:1] op_sel_hi:[1,0,1] neg_lo:[1,0,0] neg_hi:[1,0,0]
	v_pk_mul_f32 v[4:5], v[4:5], s[2:3] op_sel_hi:[1,0]
	v_add_u32_e32 v53, 0x144, v126
	v_pk_add_f32 v[12:13], v[0:1], v[4:5] op_sel:[0,1] op_sel_hi:[1,0]
	v_pk_add_f32 v[0:1], v[0:1], v[4:5] op_sel:[0,1] op_sel_hi:[1,0] neg_lo:[0,1] neg_hi:[0,1]
	v_mov_b32_e32 v4, v12
	v_mov_b32_e32 v5, v1
	ds_write2_b64 v171, v[10:11], v[4:5] offset1:1
	v_pk_add_f32 v[4:5], v[8:9], v[6:7]
	v_pk_add_f32 v[44:45], v[2:3], v[8:9]
	v_mov_b32_e32 v1, v13
	v_pk_fma_f32 v[2:3], v[4:5], 0.5, v[2:3] op_sel_hi:[1,0,1] neg_lo:[1,0,0] neg_hi:[1,0,0]
	v_pk_add_f32 v[4:5], v[8:9], v[6:7] neg_lo:[0,1] neg_hi:[0,1]
	ds_write_b64 v171, v[0:1] offset:16
	v_mul_u32_u24_e32 v0, 3, v53
	v_pk_mul_f32 v[4:5], v[4:5], s[2:3] op_sel_hi:[1,0]
	v_lshlrev_b32_e32 v173, 3, v0
	v_pk_add_f32 v[0:1], v[44:45], v[6:7]
	v_pk_add_f32 v[6:7], v[2:3], v[4:5] op_sel:[0,1] op_sel_hi:[1,0]
	v_pk_add_f32 v[2:3], v[2:3], v[4:5] op_sel:[0,1] op_sel_hi:[1,0] neg_lo:[0,1] neg_hi:[0,1]
	v_add_u32_e32 v55, 0x1b0, v126
	v_mov_b32_e32 v4, v6
	v_mov_b32_e32 v5, v3
	ds_write2_b64 v173, v[0:1], v[4:5] offset1:1
	v_mul_u32_u24_e32 v0, 3, v55
	v_mov_b32_e32 v3, v7
	v_lshlrev_b32_e32 v175, 3, v0
	v_mov_b32_e32 v0, v62
	v_mov_b32_e32 v1, v51
	ds_write_b64 v173, v[2:3] offset:16
	ds_write2_b64 v175, v[48:49], v[0:1] offset1:1
	v_mov_b32_e32 v0, v50
	v_mov_b32_e32 v1, v63
	v_mul_u32_u24_e32 v186, 3, v36
	ds_write_b64 v175, v[0:1] offset:16
	s_and_saveexec_b64 s[2:3], s[6:7]
	s_cbranch_execz .LBB0_7
; %bb.6:
	v_lshlrev_b32_e32 v2, 3, v186
	v_mov_b32_e32 v0, v60
	v_mov_b32_e32 v1, v59
	ds_write2_b64 v2, v[56:57], v[0:1] offset1:1
	v_mov_b32_e32 v0, v58
	v_mov_b32_e32 v1, v61
	ds_write_b64 v2, v[0:1] offset:16
.LBB0_7:
	s_or_b64 exec, exec, s[2:3]
	v_add_u32_e32 v4, 0x800, v108
	s_waitcnt lgkmcnt(0)
	s_barrier
	ds_read2_b64 v[44:47], v4 offset0:32 offset1:140
	v_add_u32_e32 v4, 0x1000, v108
	ds_read2_b64 v[40:43], v4 offset0:64 offset1:172
	v_add_u32_e32 v4, 0x1800, v108
	;; [unrolled: 2-line block ×4, first 2 shown]
	s_load_dwordx2 s[0:1], s[0:1], 0x8
	ds_read2_b64 v[0:3], v108 offset1:108
	ds_read2_b64 v[4:7], v4 offset0:32 offset1:140
	s_movk_i32 s2, 0x48
	s_movk_i32 s4, 0x47
	v_cmp_gt_u16_e64 s[2:3], s2, v126
	v_cmp_lt_u16_e64 s[4:5], s4, v126
	s_and_saveexec_b64 s[16:17], s[4:5]
	s_xor_b64 s[16:17], exec, s[16:17]
	s_andn2_saveexec_b64 s[16:17], s[16:17]
	s_cbranch_execz .LBB0_9
; %bb.8:
	ds_read_b64 v[8:9], v108 offset:10944
	ds_read_b64 v[58:59], v108 offset:13248
	;; [unrolled: 1-line block ×6, first 2 shown]
	s_waitcnt lgkmcnt(0)
	v_mov_b32_e32 v60, v8
	v_mov_b32_e32 v61, v59
	v_mov_b32_e32 v62, v10
	v_mov_b32_e32 v63, v51
	v_mov_b32_e32 v59, v9
	v_mov_b32_e32 v51, v11
.LBB0_9:
	s_or_b64 exec, exec, s[16:17]
	s_movk_i32 s18, 0xab
	v_mul_lo_u16_sdwa v8, v126, s18 dst_sel:DWORD dst_unused:UNUSED_PAD src0_sel:BYTE_0 src1_sel:DWORD
	v_lshrrev_b16_e32 v26, 9, v8
	v_mul_lo_u16_e32 v8, 3, v26
	v_sub_u16_e32 v8, v126, v8
	v_and_b32_e32 v27, 0xff, v8
	s_waitcnt lgkmcnt(0)
	v_mad_u64_u32 v[16:17], s[16:17], v27, 40, s[0:1]
	s_mov_b32 s16, 0xaaab
	global_load_dwordx4 v[12:15], v[16:17], off
	global_load_dwordx4 v[8:11], v[16:17], off offset:16
	global_load_dwordx2 v[148:149], v[16:17], off offset:32
	v_mul_u32_u24_sdwa v16, v54, s16 dst_sel:DWORD dst_unused:UNUSED_PAD src0_sel:WORD_0 src1_sel:DWORD
	v_lshrrev_b32_e32 v127, 17, v16
	v_mul_lo_u16_e32 v16, 3, v127
	v_sub_u16_e32 v137, v54, v16
	v_mov_b32_e32 v17, 0
	v_mul_lo_u16_e32 v16, 40, v137
	v_lshl_add_u64 v[24:25], s[0:1], 0, v[16:17]
	global_load_dwordx4 v[16:19], v[24:25], off offset:16
	global_load_dwordx2 v[150:151], v[24:25], off offset:32
	global_load_dwordx4 v[20:23], v[24:25], off
	v_mul_lo_u16_sdwa v24, v52, s18 dst_sel:DWORD dst_unused:UNUSED_PAD src0_sel:BYTE_0 src1_sel:DWORD
	v_lshrrev_b16_e32 v53, 9, v24
	v_mul_lo_u16_e32 v24, 3, v53
	v_sub_u16_e32 v24, v52, v24
	v_and_b32_e32 v55, 0xff, v24
	v_mul_u32_u24_e32 v25, 18, v26
	v_mad_u64_u32 v[64:65], s[18:19], v55, 40, s[0:1]
	v_add_lshl_u32 v161, v25, v27, 3
	global_load_dwordx2 v[152:153], v[64:65], off offset:32
	global_load_dwordx4 v[24:27], v[64:65], off offset:16
	global_load_dwordx4 v[28:31], v[64:65], off
	s_mov_b32 s16, 0x3f5db3d7
	s_mov_b32 s17, 0xbf5db3d7
	s_barrier
	s_waitcnt vmcnt(8)
	v_pk_mul_f32 v[64:65], v[44:45], v[12:13] op_sel:[0,1]
	v_mov_b32_e32 v66, v15
	s_waitcnt vmcnt(7)
	v_pk_mul_f32 v[68:69], v[36:37], v[8:9] op_sel:[0,1]
	v_mov_b32_e32 v70, v11
	s_waitcnt vmcnt(6)
	v_pk_mul_f32 v[72:73], v[4:5], v[148:149] op_sel:[0,1]
	v_pk_fma_f32 v[80:81], v[44:45], v[12:13], v[64:65] op_sel:[0,0,1] op_sel_hi:[1,1,0] neg_lo:[0,0,1] neg_hi:[0,0,1]
	v_pk_fma_f32 v[44:45], v[44:45], v[12:13], v[64:65] op_sel:[0,0,1] op_sel_hi:[1,0,0]
	v_pk_mul_f32 v[64:65], v[40:41], v[66:67] op_sel_hi:[1,0]
	v_pk_fma_f32 v[66:67], v[36:37], v[8:9], v[68:69] op_sel:[0,0,1] op_sel_hi:[1,1,0] neg_lo:[0,0,1] neg_hi:[0,0,1]
	v_pk_fma_f32 v[36:37], v[36:37], v[8:9], v[68:69] op_sel:[0,0,1] op_sel_hi:[1,0,0]
	v_pk_mul_f32 v[68:69], v[32:33], v[70:71] op_sel_hi:[1,0]
	v_pk_fma_f32 v[70:71], v[4:5], v[148:149], v[72:73] op_sel:[0,0,1] op_sel_hi:[1,1,0] neg_lo:[0,0,1] neg_hi:[0,0,1]
	v_pk_fma_f32 v[4:5], v[4:5], v[148:149], v[72:73] op_sel:[0,0,1] op_sel_hi:[1,0,0]
	v_mov_b32_e32 v67, v37
	v_pk_fma_f32 v[36:37], v[40:41], v[14:15], v[64:65] op_sel:[0,0,1] op_sel_hi:[1,1,0] neg_lo:[0,0,1] neg_hi:[0,0,1]
	v_pk_fma_f32 v[40:41], v[40:41], v[14:15], v[64:65] op_sel:[0,0,1] op_sel_hi:[1,0,0]
	v_mov_b32_e32 v71, v5
	v_pk_fma_f32 v[4:5], v[32:33], v[10:11], v[68:69] op_sel:[0,0,1] op_sel_hi:[1,1,0] neg_lo:[0,0,1] neg_hi:[0,0,1]
	v_pk_fma_f32 v[32:33], v[32:33], v[10:11], v[68:69] op_sel:[0,0,1] op_sel_hi:[1,0,0]
	s_waitcnt vmcnt(5)
	v_pk_mul_f32 v[74:75], v[58:59], v[18:19] op_sel:[1,0]
	v_mov_b32_e32 v81, v45
	v_mov_b32_e32 v37, v41
	v_mov_b32_e32 v5, v33
	v_pk_add_f32 v[40:41], v[66:67], v[70:71]
	s_waitcnt vmcnt(4)
	v_pk_mul_f32 v[76:77], v[60:61], v[150:151] op_sel:[1,0]
	v_pk_fma_f32 v[72:73], v[60:61], v[18:19], v[74:75] op_sel:[0,0,1] op_sel_hi:[1,1,0] neg_lo:[0,0,1] neg_hi:[0,0,1]
	v_pk_fma_f32 v[60:61], v[60:61], v[18:19], v[74:75] op_sel:[0,0,1] op_sel_hi:[0,1,0]
	v_pk_add_f32 v[32:33], v[80:81], v[66:67]
	v_pk_add_f32 v[44:45], v[66:67], v[70:71] neg_lo:[0,1] neg_hi:[0,1]
	v_pk_fma_f32 v[40:41], v[40:41], 0.5, v[80:81] op_sel_hi:[1,0,1] neg_lo:[1,0,0] neg_hi:[1,0,0]
	v_pk_add_f32 v[64:65], v[36:37], v[4:5]
	s_waitcnt vmcnt(3)
	v_pk_mul_f32 v[78:79], v[62:63], v[20:21] op_sel_hi:[0,1]
	v_pk_fma_f32 v[74:75], v[58:59], v[150:151], v[76:77] op_sel:[0,0,1] op_sel_hi:[1,1,0] neg_lo:[0,0,1] neg_hi:[0,0,1]
	v_pk_fma_f32 v[58:59], v[58:59], v[150:151], v[76:77] op_sel:[0,0,1] op_sel_hi:[0,1,0]
	v_mov_b32_e32 v73, v61
	v_pk_add_f32 v[60:61], v[32:33], v[70:71]
	v_pk_add_f32 v[32:33], v[0:1], v[36:37]
	v_pk_add_f32 v[36:37], v[36:37], v[4:5] neg_lo:[0,1] neg_hi:[0,1]
	v_pk_fma_f32 v[0:1], v[64:65], 0.5, v[0:1] op_sel_hi:[1,0,1] neg_lo:[1,0,0] neg_hi:[1,0,0]
	v_pk_fma_f32 v[64:65], v[44:45], s[16:17], v[40:41] op_sel:[0,0,1] op_sel_hi:[1,0,0]
	v_pk_fma_f32 v[68:69], v[44:45], s[16:17], v[40:41] op_sel:[0,0,1] op_sel_hi:[1,0,0] neg_lo:[1,0,0] neg_hi:[1,0,0]
	v_pk_fma_f32 v[76:77], v[50:51], v[20:21], v[78:79] op_sel:[1,0,1] op_sel_hi:[1,1,0]
	v_pk_fma_f32 v[78:79], v[50:51], v[20:21], v[78:79] op_sel:[1,0,1] op_sel_hi:[1,1,0] neg_lo:[1,0,0] neg_hi:[1,0,0]
	v_pk_add_f32 v[66:67], v[32:33], v[4:5]
	v_pk_mul_f32 v[4:5], v[36:37], s[16:17] op_sel_hi:[1,0]
	v_mul_f32_e32 v58, 0x3f5db3d7, v68
	v_mul_f32_e32 v80, 0xbf5db3d7, v65
	v_mov_b32_e32 v77, v79
	v_pk_add_f32 v[70:71], v[4:5], v[0:1] op_sel:[1,0] op_sel_hi:[0,1]
	v_pk_add_f32 v[78:79], v[0:1], v[4:5] op_sel:[0,1] op_sel_hi:[1,0] neg_lo:[0,1] neg_hi:[0,1]
	v_fmac_f32_e32 v58, 0.5, v65
	v_fmac_f32_e32 v80, 0.5, v68
	v_pk_mul_f32 v[62:63], v[62:63], v[22:23] op_sel:[1,0]
	v_pk_add_f32 v[0:1], v[66:67], v[60:61]
	v_add_f32_e32 v4, v70, v58
	v_add_f32_e32 v5, v79, v80
	v_pk_fma_f32 v[82:83], v[50:51], v[22:23], v[62:63] op_sel:[0,0,1] op_sel_hi:[1,1,0] neg_lo:[0,0,1] neg_hi:[0,0,1]
	ds_write2_b64 v161, v[0:1], v[4:5] offset1:3
	v_pk_fma_f32 v[0:1], v[50:51], v[22:23], v[62:63] op_sel:[0,0,1] op_sel_hi:[0,1,0]
	v_mov_b32_e32 v83, v1
	v_pk_mul_f32 v[0:1], v[56:57], v[16:17] op_sel_hi:[0,1]
	v_pk_fma_f32 v[36:37], v[56:57], v[16:17], v[0:1] op_sel:[1,0,1] op_sel_hi:[1,1,0]
	v_pk_fma_f32 v[40:41], v[56:57], v[16:17], v[0:1] op_sel:[1,0,1] op_sel_hi:[1,1,0] neg_lo:[1,0,0] neg_hi:[1,0,0]
	v_pk_add_f32 v[0:1], v[82:83], v[72:73]
	v_pk_add_f32 v[44:45], v[82:83], v[72:73] neg_lo:[0,1] neg_hi:[0,1]
	v_pk_fma_f32 v[32:33], v[0:1], 0.5, v[48:49] op_sel_hi:[1,0,1] neg_lo:[1,0,0] neg_hi:[1,0,0]
	v_pk_add_f32 v[0:1], v[48:49], v[82:83]
	v_pk_mul_f32 v[44:45], v[44:45], s[16:17] op_sel_hi:[1,0]
	v_pk_add_f32 v[4:5], v[0:1], v[72:73]
	v_pk_add_f32 v[0:1], v[44:45], v[32:33] op_sel:[1,0] op_sel_hi:[0,1]
	v_pk_add_f32 v[32:33], v[32:33], v[44:45] op_sel:[0,1] op_sel_hi:[1,0] neg_lo:[0,1] neg_hi:[0,1]
	v_mov_b32_e32 v44, v59
	v_mov_b32_e32 v45, v74
	v_mov_b32_e32 v37, v41
	v_mov_b32_e32 v75, v59
	v_pk_add_f32 v[44:45], v[36:37], v[44:45]
	v_mov_b32_e32 v40, v41
	v_mov_b32_e32 v41, v36
	v_pk_fma_f32 v[44:45], v[44:45], 0.5, v[76:77] op_sel_hi:[1,0,1] neg_lo:[1,0,0] neg_hi:[1,0,0]
	v_pk_add_f32 v[40:41], v[40:41], v[74:75] neg_lo:[0,1] neg_hi:[0,1]
	v_mov_b32_e32 v68, v64
	v_pk_fma_f32 v[48:49], v[40:41], s[16:17], v[44:45] op_sel_hi:[1,0,1]
	v_pk_fma_f32 v[56:57], v[40:41], s[16:17], v[44:45] op_sel_hi:[1,0,1] neg_lo:[1,0,0] neg_hi:[1,0,0]
	v_mov_b32_e32 v40, v48
	v_mov_b32_e32 v41, v57
	v_pk_mul_f32 v[44:45], v[40:41], 0.5 op_sel_hi:[1,0]
	v_mul_f32_e32 v50, 0x3f5db3d7, v56
	v_pk_fma_f32 v[40:41], v[40:41], s[16:17], v[44:45] op_sel:[0,0,1] op_sel_hi:[1,1,0] neg_lo:[0,0,1] neg_hi:[0,0,1]
	v_mul_f32_e32 v44, 0xbf5db3d7, v49
	v_fmac_f32_e32 v44, 0.5, v56
	v_sub_f32_e32 v56, v70, v58
	v_pk_mul_f32 v[58:59], v[68:69], 0.5 op_sel_hi:[1,0]
	v_mov_b32_e32 v70, v78
	v_pk_fma_f32 v[58:59], v[68:69], s[16:17], v[58:59] op_sel:[0,0,1] op_sel_hi:[1,1,0] neg_lo:[0,0,1] neg_hi:[0,0,1]
	v_pk_add_f32 v[36:37], v[76:77], v[36:37]
	v_sub_f32_e32 v57, v79, v80
	v_mov_b32_e32 v45, v40
	v_pk_add_f32 v[62:63], v[70:71], v[58:59]
	v_pk_add_f32 v[58:59], v[70:71], v[58:59] neg_lo:[0,1] neg_hi:[0,1]
	v_pk_add_f32 v[36:37], v[36:37], v[74:75] op_sel:[1,0] op_sel_hi:[0,1]
	v_mov_b32_e32 v48, v32
	v_pk_add_f32 v[74:75], v[32:33], v[44:45] op_sel:[1,0] op_sel_hi:[0,1] neg_lo:[0,1] neg_hi:[0,1]
	ds_write2_b64 v161, v[56:57], v[58:59] offset0:12 offset1:15
	v_mul_u32_u24_e32 v32, 18, v53
	s_waitcnt vmcnt(0)
	v_pk_mul_f32 v[56:57], v[46:47], v[28:29] op_sel:[0,1]
	v_add_lshl_u32 v202, v32, v55, 3
	v_pk_fma_f32 v[58:59], v[46:47], v[28:29], v[56:57] op_sel:[0,0,1] op_sel_hi:[1,1,0] neg_lo:[0,0,1] neg_hi:[0,0,1]
	v_pk_fma_f32 v[46:47], v[46:47], v[28:29], v[56:57] op_sel:[0,0,1] op_sel_hi:[1,0,0]
	v_mov_b32_e32 v32, v31
	v_mov_b32_e32 v59, v47
	v_pk_mul_f32 v[46:47], v[42:43], v[32:33] op_sel_hi:[1,0]
	v_mov_b32_e32 v32, v27
	v_pk_fma_f32 v[56:57], v[42:43], v[30:31], v[46:47] op_sel:[0,0,1] op_sel_hi:[1,1,0] neg_lo:[0,0,1] neg_hi:[0,0,1]
	v_pk_fma_f32 v[42:43], v[42:43], v[30:31], v[46:47] op_sel:[0,0,1] op_sel_hi:[1,0,0]
	v_pk_add_f32 v[60:61], v[66:67], v[60:61] neg_lo:[0,1] neg_hi:[0,1]
	v_mov_b32_e32 v57, v43
	v_pk_mul_f32 v[42:43], v[38:39], v[24:25] op_sel:[0,1]
	ds_write2_b64 v161, v[62:63], v[60:61] offset0:6 offset1:9
	v_pk_fma_f32 v[46:47], v[38:39], v[24:25], v[42:43] op_sel:[0,0,1] op_sel_hi:[1,1,0] neg_lo:[0,0,1] neg_hi:[0,0,1]
	v_pk_fma_f32 v[38:39], v[38:39], v[24:25], v[42:43] op_sel:[0,0,1] op_sel_hi:[1,0,0]
	v_fmac_f32_e32 v50, 0.5, v49
	v_mov_b32_e32 v47, v39
	v_pk_mul_f32 v[38:39], v[34:35], v[32:33] op_sel_hi:[1,0]
	v_mov_b32_e32 v49, v1
	v_pk_fma_f32 v[42:43], v[34:35], v[26:27], v[38:39] op_sel:[0,0,1] op_sel_hi:[1,1,0] neg_lo:[0,0,1] neg_hi:[0,0,1]
	v_pk_fma_f32 v[34:35], v[34:35], v[26:27], v[38:39] op_sel:[0,0,1] op_sel_hi:[1,0,0]
	s_nop 0
	v_mov_b32_e32 v43, v35
	v_pk_mul_f32 v[34:35], v[6:7], v[152:153] op_sel:[0,1]
	v_pk_add_f32 v[62:63], v[56:57], v[42:43]
	v_pk_fma_f32 v[38:39], v[6:7], v[152:153], v[34:35] op_sel:[0,0,1] op_sel_hi:[1,1,0] neg_lo:[0,0,1] neg_hi:[0,0,1]
	v_pk_fma_f32 v[6:7], v[6:7], v[152:153], v[34:35] op_sel:[0,0,1] op_sel_hi:[1,0,0]
	v_pk_add_f32 v[34:35], v[58:59], v[46:47]
	v_mov_b32_e32 v39, v7
	v_pk_add_f32 v[6:7], v[2:3], v[56:57]
	v_pk_fma_f32 v[2:3], v[62:63], 0.5, v[2:3] op_sel_hi:[1,0,1] neg_lo:[1,0,0] neg_hi:[1,0,0]
	v_pk_add_f32 v[62:63], v[46:47], v[38:39]
	v_pk_add_f32 v[6:7], v[6:7], v[42:43]
	;; [unrolled: 1-line block ×3, first 2 shown]
	v_pk_add_f32 v[42:43], v[56:57], v[42:43] neg_lo:[0,1] neg_hi:[0,1]
	v_pk_fma_f32 v[58:59], v[62:63], 0.5, v[58:59] op_sel_hi:[1,0,1] neg_lo:[1,0,0] neg_hi:[1,0,0]
	v_pk_add_f32 v[38:39], v[46:47], v[38:39] neg_lo:[0,1] neg_hi:[0,1]
	v_pk_mul_f32 v[42:43], v[42:43], s[16:17] op_sel_hi:[1,0]
	v_pk_fma_f32 v[46:47], v[38:39], s[16:17], v[58:59] op_sel:[0,0,1] op_sel_hi:[1,0,0]
	v_pk_fma_f32 v[38:39], v[38:39], s[16:17], v[58:59] op_sel:[0,0,1] op_sel_hi:[1,0,0] neg_lo:[1,0,0] neg_hi:[1,0,0]
	v_pk_add_f32 v[56:57], v[42:43], v[2:3] op_sel:[1,0] op_sel_hi:[0,1]
	v_pk_add_f32 v[2:3], v[2:3], v[42:43] op_sel:[0,1] op_sel_hi:[1,0] neg_lo:[0,1] neg_hi:[0,1]
	v_mov_b32_e32 v58, v46
	v_mov_b32_e32 v59, v39
	v_mul_f32_e32 v32, 0xbf5db3d7, v47
	v_mov_b32_e32 v42, v2
	v_mul_f32_e32 v2, 0x3f5db3d7, v38
	v_fmac_f32_e32 v32, 0.5, v38
	v_pk_mul_f32 v[38:39], v[58:59], 0.5 op_sel_hi:[1,0]
	v_mov_b32_e32 v43, v57
	v_pk_fma_f32 v[38:39], v[58:59], s[16:17], v[38:39] op_sel:[0,0,1] op_sel_hi:[1,1,0] neg_lo:[0,0,1] neg_hi:[0,0,1]
	v_pk_add_f32 v[60:61], v[6:7], v[34:35]
	v_fmac_f32_e32 v2, 0.5, v47
	v_pk_add_f32 v[58:59], v[42:43], v[38:39]
	v_pk_add_f32 v[6:7], v[6:7], v[34:35] neg_lo:[0,1] neg_hi:[0,1]
	v_add_f32_e32 v46, v56, v2
	v_add_f32_e32 v47, v3, v32
	v_sub_f32_e32 v2, v56, v2
	v_sub_f32_e32 v3, v3, v32
	ds_write2_b64 v202, v[58:59], v[6:7] offset0:6 offset1:9
	v_pk_add_f32 v[6:7], v[42:43], v[38:39] neg_lo:[0,1] neg_hi:[0,1]
	ds_write2_b64 v202, v[60:61], v[46:47] offset1:3
	ds_write2_b64 v202, v[2:3], v[6:7] offset0:12 offset1:15
	s_and_saveexec_b64 s[16:17], s[4:5]
	s_xor_b64 s[16:17], exec, s[16:17]
	s_or_saveexec_b64 s[16:17], s[16:17]
	v_add_f32_e32 v88, v0, v50
	v_pk_add_f32 v[72:73], v[4:5], v[36:37]
	v_add_f32_e32 v84, v33, v44
	v_pk_add_f32 v[82:83], v[48:49], v[40:41]
	v_sub_f32_e32 v76, v0, v50
	v_pk_add_f32 v[78:79], v[4:5], v[36:37] neg_lo:[0,1] neg_hi:[0,1]
	v_sub_f32_e32 v86, v1, v41
	s_xor_b64 exec, exec, s[16:17]
	s_cbranch_execz .LBB0_11
; %bb.10:
	s_mov_b32 s18, 0xaaab
	v_mul_u32_u24_sdwa v0, v54, s18 dst_sel:DWORD dst_unused:UNUSED_PAD src0_sel:WORD_0 src1_sel:DWORD
	v_lshrrev_b32_e32 v0, 17, v0
	v_mad_legacy_u16 v0, v0, 18, v137
	v_lshlrev_b32_e32 v2, 3, v0
	v_mov_b32_e32 v89, v84
	v_mov_b32_e32 v77, v74
	;; [unrolled: 1-line block ×4, first 2 shown]
	ds_write2_b64 v2, v[72:73], v[88:89] offset1:3
	ds_write2_b64 v2, v[82:83], v[78:79] offset0:6 offset1:9
	ds_write2_b64 v2, v[76:77], v[0:1] offset0:12 offset1:15
.LBB0_11:
	s_or_b64 exec, exec, s[16:17]
	v_add_u32_e32 v0, 0x800, v108
	s_waitcnt lgkmcnt(0)
	s_barrier
	ds_read2_b64 v[68:71], v0 offset0:32 offset1:140
	v_add_u32_e32 v0, 0x1000, v108
	ds_read2_b64 v[64:67], v0 offset0:64 offset1:172
	v_add_u32_e32 v0, 0x1800, v108
	;; [unrolled: 2-line block ×4, first 2 shown]
	ds_read2_b64 v[40:43], v108 offset1:108
	ds_read2_b64 v[44:47], v0 offset0:32 offset1:140
	s_and_saveexec_b64 s[16:17], s[4:5]
	s_xor_b64 s[16:17], exec, s[16:17]
	s_andn2_saveexec_b64 s[16:17], s[16:17]
	s_cbranch_execz .LBB0_13
; %bb.12:
	ds_read_b64 v[76:77], v108 offset:10944
	ds_read_b64 v[0:1], v108 offset:13248
	;; [unrolled: 1-line block ×6, first 2 shown]
	s_waitcnt lgkmcnt(5)
	v_mov_b32_e32 v74, v77
	s_waitcnt lgkmcnt(4)
	v_mov_b32_e32 v75, v0
	v_mov_b32_e32 v86, v1
	s_waitcnt lgkmcnt(2)
	v_mov_b32_e32 v84, v89
.LBB0_13:
	s_or_b64 exec, exec, s[16:17]
	v_mov_b32_e32 v53, 57
	v_mul_lo_u16_sdwa v0, v126, v53 dst_sel:DWORD dst_unused:UNUSED_PAD src0_sel:BYTE_0 src1_sel:DWORD
	v_lshrrev_b16_e32 v60, 10, v0
	v_mul_lo_u16_e32 v0, 18, v60
	s_mov_b32 s16, 0xe38f
	v_sub_u16_e32 v34, v126, v0
	v_mul_u32_u24_sdwa v0, v54, s16 dst_sel:DWORD dst_unused:UNUSED_PAD src0_sel:WORD_0 src1_sel:DWORD
	v_lshrrev_b32_e32 v163, 20, v0
	v_mul_lo_u16_e32 v0, 18, v163
	v_sub_u16_e32 v165, v54, v0
	v_mul_lo_u16_e32 v80, 40, v165
	v_mov_b32_e32 v81, 0
	v_lshl_add_u64 v[32:33], s[0:1], 0, v[80:81]
	global_load_dwordx4 v[4:7], v[32:33], off offset:136
	global_load_dwordx4 v[0:3], v[32:33], off offset:120
	v_and_b32_e32 v62, 0xff, v34
	v_mad_u64_u32 v[54:55], s[16:17], v62, 40, s[0:1]
	global_load_dwordx2 v[146:147], v[32:33], off offset:152
	global_load_dwordx4 v[36:39], v[54:55], off offset:120
	s_nop 0
	global_load_dwordx4 v[32:35], v[54:55], off offset:136
	global_load_dwordx2 v[156:157], v[54:55], off offset:152
	v_mul_lo_u16_sdwa v53, v52, v53 dst_sel:DWORD dst_unused:UNUSED_PAD src0_sel:BYTE_0 src1_sel:DWORD
	v_lshrrev_b16_e32 v93, 10, v53
	v_mul_lo_u16_e32 v53, 18, v93
	v_sub_u16_e32 v52, v52, v53
	v_and_b32_e32 v106, 0xff, v52
	v_mul_u32_u24_e32 v54, 0x6c, v60
	v_mad_u64_u32 v[60:61], s[22:23], v106, 40, s[0:1]
	v_add_lshl_u32 v203, v54, v62, 3
	global_load_dwordx2 v[158:159], v[60:61], off offset:152
	global_load_dwordx4 v[52:55], v[60:61], off offset:136
	s_nop 0
	global_load_dwordx4 v[60:63], v[60:61], off offset:120
	s_mov_b32 s16, 0x3f5db3d7
	s_mov_b32 s20, 0.5
	s_mov_b32 s21, s16
	s_waitcnt lgkmcnt(0)
	s_barrier
	s_movk_i32 s18, 0x6c
	s_waitcnt vmcnt(8)
	v_pk_mul_f32 v[94:95], v[74:75], v[6:7] op_sel_hi:[0,1]
	s_waitcnt vmcnt(7)
	v_pk_mul_f32 v[90:91], v[82:83], v[2:3] op_sel:[1,0]
	v_pk_mul_f32 v[88:89], v[88:89], v[0:1] op_sel_hi:[0,1]
	v_pk_mul_f32 v[96:97], v[78:79], v[4:5] op_sel_hi:[0,1]
	s_waitcnt vmcnt(6)
	v_pk_mul_f32 v[98:99], v[74:75], v[146:147] op_sel:[1,0]
	s_waitcnt vmcnt(5)
	v_pk_mul_f32 v[100:101], v[68:69], v[36:37] op_sel:[0,1]
	v_mov_b32_e32 v80, v39
	v_pk_fma_f32 v[74:75], v[82:83], v[2:3], v[90:91] op_sel:[0,0,1] op_sel_hi:[1,1,0] neg_lo:[0,0,1] neg_hi:[0,0,1]
	v_pk_fma_f32 v[90:91], v[82:83], v[2:3], v[90:91] op_sel:[0,0,1] op_sel_hi:[0,1,0]
	v_pk_fma_f32 v[82:83], v[76:77], v[6:7], v[94:95] op_sel:[0,0,1] op_sel_hi:[1,1,0] neg_lo:[0,0,1] neg_hi:[0,0,1]
	v_pk_fma_f32 v[94:95], v[76:77], v[6:7], v[94:95] op_sel:[0,0,1] op_sel_hi:[0,1,0]
	v_pk_fma_f32 v[76:77], v[84:85], v[0:1], v[88:89] op_sel:[0,0,1] op_sel_hi:[1,1,0]
	v_pk_fma_f32 v[102:103], v[84:85], v[0:1], v[88:89] op_sel:[0,0,1] op_sel_hi:[0,1,0] neg_lo:[1,0,0] neg_hi:[1,0,0]
	v_pk_fma_f32 v[84:85], v[78:79], v[4:5], v[96:97] op_sel:[1,0,1] op_sel_hi:[1,1,0]
	v_pk_fma_f32 v[78:79], v[78:79], v[4:5], v[96:97] op_sel:[1,0,1] op_sel_hi:[1,1,0] neg_lo:[1,0,0] neg_hi:[1,0,0]
	;; [unrolled: 2-line block ×3, first 2 shown]
	v_pk_fma_f32 v[96:97], v[68:69], v[36:37], v[100:101] op_sel:[0,0,1] op_sel_hi:[1,1,0] neg_lo:[0,0,1] neg_hi:[0,0,1]
	v_pk_fma_f32 v[68:69], v[68:69], v[36:37], v[100:101] op_sel:[0,0,1] op_sel_hi:[1,0,0]
	v_pk_mul_f32 v[98:99], v[64:65], v[80:81] op_sel_hi:[1,0]
	v_mov_b32_e32 v75, v91
	v_mov_b32_e32 v83, v95
	;; [unrolled: 1-line block ×6, first 2 shown]
	v_pk_fma_f32 v[94:95], v[64:65], v[38:39], v[98:99] op_sel:[0,0,1] op_sel_hi:[1,1,0] neg_lo:[0,0,1] neg_hi:[0,0,1]
	v_pk_fma_f32 v[64:65], v[64:65], v[38:39], v[98:99] op_sel:[0,0,1] op_sel_hi:[1,0,0]
	v_pk_add_f32 v[68:69], v[74:75], v[82:83]
	v_pk_add_f32 v[78:79], v[74:75], v[82:83] neg_lo:[0,1] neg_hi:[0,1]
	v_pk_add_f32 v[86:87], v[84:85], v[88:89]
	v_pk_add_f32 v[90:91], v[84:85], v[88:89] neg_lo:[0,1] neg_hi:[0,1]
	v_mov_b32_e32 v95, v65
	v_pk_fma_f32 v[64:65], v[68:69], 0.5, v[72:73] op_sel_hi:[1,0,1] neg_lo:[1,0,0] neg_hi:[1,0,0]
	v_pk_mul_f32 v[68:69], v[78:79], s[16:17] op_sel_hi:[1,0]
	v_pk_fma_f32 v[78:79], v[86:87], 0.5, v[76:77] op_sel_hi:[1,0,1] neg_lo:[1,0,0] neg_hi:[1,0,0]
	v_pk_mul_f32 v[86:87], v[90:91], s[16:17] op_sel_hi:[1,0]
	v_pk_add_f32 v[90:91], v[64:65], v[68:69] op_sel:[0,1] op_sel_hi:[1,0]
	v_pk_add_f32 v[64:65], v[64:65], v[68:69] op_sel:[0,1] op_sel_hi:[1,0] neg_lo:[0,1] neg_hi:[0,1]
	v_pk_add_f32 v[98:99], v[86:87], v[78:79] op_sel:[1,0] op_sel_hi:[0,1]
	v_pk_add_f32 v[78:79], v[78:79], v[86:87] op_sel:[0,1] op_sel_hi:[1,0] neg_lo:[0,1] neg_hi:[0,1]
	s_mov_b32 s17, s20
	v_mov_b32_e32 v68, v90
	v_mov_b32_e32 v69, v65
	;; [unrolled: 1-line block ×5, first 2 shown]
	v_pk_mul_f32 v[98:99], v[98:99], s[20:21] op_sel:[1,0]
	s_nop 0
	v_pk_fma_f32 v[86:87], v[78:79], s[16:17], v[98:99]
	v_pk_fma_f32 v[78:79], v[78:79], s[16:17], v[98:99] op_sel_hi:[0,1,1] neg_lo:[0,0,1] neg_hi:[0,0,1]
	s_mov_b32 s17, 0xbf5db3d7
	v_pk_mul_f32 v[98:99], v[90:91], 0.5 op_sel_hi:[1,0]
	v_mov_b32_e32 v87, v79
	v_pk_fma_f32 v[90:91], v[90:91], s[16:17], v[98:99] op_sel:[0,0,1] op_sel_hi:[1,1,0] neg_lo:[0,0,1] neg_hi:[0,0,1]
	s_waitcnt vmcnt(4)
	v_pk_mul_f32 v[98:99], v[56:57], v[32:33] op_sel:[0,1]
	v_pk_add_f32 v[78:79], v[68:69], v[86:87] neg_lo:[0,1] neg_hi:[0,1]
	v_pk_fma_f32 v[100:101], v[56:57], v[32:33], v[98:99] op_sel:[0,0,1] op_sel_hi:[1,1,0] neg_lo:[0,0,1] neg_hi:[0,0,1]
	v_pk_fma_f32 v[56:57], v[56:57], v[32:33], v[98:99] op_sel:[0,0,1] op_sel_hi:[1,0,0]
	v_pk_add_f32 v[176:177], v[64:65], v[90:91] neg_lo:[0,1] neg_hi:[0,1]
	v_mov_b32_e32 v56, v35
	v_mov_b32_e32 v101, v57
	v_pk_mul_f32 v[56:57], v[48:49], v[56:57] op_sel_hi:[1,0]
	s_nop 0
	v_pk_fma_f32 v[98:99], v[48:49], v[34:35], v[56:57] op_sel:[0,0,1] op_sel_hi:[1,1,0] neg_lo:[0,0,1] neg_hi:[0,0,1]
	v_pk_fma_f32 v[48:49], v[48:49], v[34:35], v[56:57] op_sel:[0,0,1] op_sel_hi:[1,0,0]
	s_nop 0
	v_mov_b32_e32 v99, v49
	s_waitcnt vmcnt(3)
	v_pk_mul_f32 v[48:49], v[44:45], v[156:157] op_sel:[0,1]
	v_pk_add_f32 v[104:105], v[94:95], v[98:99]
	v_pk_fma_f32 v[56:57], v[44:45], v[156:157], v[48:49] op_sel:[0,0,1] op_sel_hi:[1,1,0] neg_lo:[0,0,1] neg_hi:[0,0,1]
	v_pk_fma_f32 v[44:45], v[44:45], v[156:157], v[48:49] op_sel:[0,0,1] op_sel_hi:[1,0,0]
	v_pk_add_f32 v[48:49], v[96:97], v[100:101]
	v_mov_b32_e32 v57, v45
	v_pk_add_f32 v[44:45], v[40:41], v[94:95]
	v_pk_fma_f32 v[40:41], v[104:105], 0.5, v[40:41] op_sel_hi:[1,0,1] neg_lo:[1,0,0] neg_hi:[1,0,0]
	v_pk_add_f32 v[104:105], v[100:101], v[56:57]
	v_pk_add_f32 v[48:49], v[48:49], v[56:57]
	v_pk_add_f32 v[94:95], v[94:95], v[98:99] neg_lo:[0,1] neg_hi:[0,1]
	v_pk_fma_f32 v[96:97], v[104:105], 0.5, v[96:97] op_sel_hi:[1,0,1] neg_lo:[1,0,0] neg_hi:[1,0,0]
	v_pk_add_f32 v[56:57], v[100:101], v[56:57] neg_lo:[0,1] neg_hi:[0,1]
	v_pk_mul_f32 v[94:95], v[94:95], s[16:17] op_sel_hi:[1,0]
	v_pk_fma_f32 v[100:101], v[56:57], s[16:17], v[96:97] op_sel:[0,0,1] op_sel_hi:[1,0,0]
	v_pk_fma_f32 v[56:57], v[56:57], s[16:17], v[96:97] op_sel:[0,0,1] op_sel_hi:[1,0,0] neg_lo:[1,0,0] neg_hi:[1,0,0]
	v_pk_add_f32 v[44:45], v[44:45], v[98:99]
	v_pk_add_f32 v[98:99], v[94:95], v[40:41] op_sel:[1,0] op_sel_hi:[0,1]
	v_pk_add_f32 v[40:41], v[40:41], v[94:95] op_sel:[0,1] op_sel_hi:[1,0] neg_lo:[0,1] neg_hi:[0,1]
	v_mov_b32_e32 v96, v100
	v_mov_b32_e32 v97, v57
	v_mul_f32_e32 v80, 0xbf5db3d7, v101
	v_mov_b32_e32 v94, v40
	v_mul_f32_e32 v40, 0x3f5db3d7, v56
	v_fmac_f32_e32 v80, 0.5, v56
	v_pk_mul_f32 v[56:57], v[96:97], 0.5 op_sel_hi:[1,0]
	v_mov_b32_e32 v95, v99
	v_pk_fma_f32 v[56:57], v[96:97], s[16:17], v[56:57] op_sel:[0,0,1] op_sel_hi:[1,1,0] neg_lo:[0,0,1] neg_hi:[0,0,1]
	v_pk_add_f32 v[102:103], v[44:45], v[48:49]
	v_fmac_f32_e32 v40, 0.5, v101
	v_pk_add_f32 v[96:97], v[94:95], v[56:57]
	v_pk_add_f32 v[44:45], v[44:45], v[48:49] neg_lo:[0,1] neg_hi:[0,1]
	v_add_f32_e32 v100, v98, v40
	v_add_f32_e32 v101, v41, v80
	v_sub_f32_e32 v40, v98, v40
	v_sub_f32_e32 v41, v41, v80
	ds_write2_b64 v203, v[96:97], v[44:45] offset0:36 offset1:54
	v_pk_add_f32 v[44:45], v[94:95], v[56:57] neg_lo:[0,1] neg_hi:[0,1]
	ds_write2_b64 v203, v[40:41], v[44:45] offset0:72 offset1:90
	v_mul_u32_u24_e32 v40, 0x6c, v93
	v_add_lshl_u32 v204, v40, v106, 3
	s_waitcnt vmcnt(0)
	v_pk_mul_f32 v[40:41], v[70:71], v[60:61] op_sel:[0,1]
	ds_write2_b64 v203, v[102:103], v[100:101] offset1:18
	v_pk_fma_f32 v[44:45], v[70:71], v[60:61], v[40:41] op_sel:[0,0,1] op_sel_hi:[1,1,0] neg_lo:[0,0,1] neg_hi:[0,0,1]
	v_pk_fma_f32 v[40:41], v[70:71], v[60:61], v[40:41] op_sel:[0,0,1] op_sel_hi:[1,0,0]
	s_nop 0
	v_mov_b32_e32 v40, v63
	v_mov_b32_e32 v45, v41
	v_pk_mul_f32 v[40:41], v[66:67], v[40:41] op_sel_hi:[1,0]
	s_nop 0
	v_pk_fma_f32 v[48:49], v[66:67], v[62:63], v[40:41] op_sel:[0,0,1] op_sel_hi:[1,1,0] neg_lo:[0,0,1] neg_hi:[0,0,1]
	v_pk_fma_f32 v[40:41], v[66:67], v[62:63], v[40:41] op_sel:[0,0,1] op_sel_hi:[1,0,0]
	s_nop 0
	v_mov_b32_e32 v49, v41
	v_pk_mul_f32 v[40:41], v[58:59], v[52:53] op_sel:[0,1]
	s_nop 0
	v_pk_fma_f32 v[56:57], v[58:59], v[52:53], v[40:41] op_sel:[0,0,1] op_sel_hi:[1,1,0] neg_lo:[0,0,1] neg_hi:[0,0,1]
	v_pk_fma_f32 v[40:41], v[58:59], v[52:53], v[40:41] op_sel:[0,0,1] op_sel_hi:[1,0,0]
	s_nop 0
	v_mov_b32_e32 v40, v55
	v_mov_b32_e32 v57, v41
	v_pk_mul_f32 v[40:41], v[50:51], v[40:41] op_sel_hi:[1,0]
	s_nop 0
	v_pk_fma_f32 v[58:59], v[50:51], v[54:55], v[40:41] op_sel:[0,0,1] op_sel_hi:[1,1,0] neg_lo:[0,0,1] neg_hi:[0,0,1]
	v_pk_fma_f32 v[40:41], v[50:51], v[54:55], v[40:41] op_sel:[0,0,1] op_sel_hi:[1,0,0]
	s_nop 0
	v_mov_b32_e32 v59, v41
	v_pk_mul_f32 v[40:41], v[46:47], v[158:159] op_sel:[0,1]
	v_pk_add_f32 v[70:71], v[48:49], v[58:59]
	v_pk_fma_f32 v[50:51], v[46:47], v[158:159], v[40:41] op_sel:[0,0,1] op_sel_hi:[1,1,0] neg_lo:[0,0,1] neg_hi:[0,0,1]
	v_pk_fma_f32 v[40:41], v[46:47], v[158:159], v[40:41] op_sel:[0,0,1] op_sel_hi:[1,0,0]
	v_pk_add_f32 v[46:47], v[44:45], v[56:57]
	v_mov_b32_e32 v51, v41
	v_pk_add_f32 v[40:41], v[42:43], v[48:49]
	v_pk_fma_f32 v[42:43], v[70:71], 0.5, v[42:43] op_sel_hi:[1,0,1] neg_lo:[1,0,0] neg_hi:[1,0,0]
	v_pk_add_f32 v[48:49], v[48:49], v[58:59] neg_lo:[0,1] neg_hi:[0,1]
	v_pk_add_f32 v[70:71], v[56:57], v[50:51]
	v_pk_add_f32 v[46:47], v[46:47], v[50:51]
	v_pk_mul_f32 v[48:49], v[48:49], s[16:17] op_sel_hi:[1,0]
	v_pk_fma_f32 v[44:45], v[70:71], 0.5, v[44:45] op_sel_hi:[1,0,1] neg_lo:[1,0,0] neg_hi:[1,0,0]
	v_pk_add_f32 v[50:51], v[56:57], v[50:51] neg_lo:[0,1] neg_hi:[0,1]
	v_pk_add_f32 v[40:41], v[40:41], v[58:59]
	v_pk_add_f32 v[58:59], v[48:49], v[42:43] op_sel:[1,0] op_sel_hi:[0,1]
	v_pk_fma_f32 v[56:57], v[50:51], s[16:17], v[44:45] op_sel:[0,0,1] op_sel_hi:[1,0,0]
	v_pk_fma_f32 v[44:45], v[50:51], s[16:17], v[44:45] op_sel:[0,0,1] op_sel_hi:[1,0,0] neg_lo:[1,0,0] neg_hi:[1,0,0]
	v_pk_add_f32 v[42:43], v[42:43], v[48:49] op_sel:[0,1] op_sel_hi:[1,0] neg_lo:[0,1] neg_hi:[0,1]
	v_mov_b32_e32 v49, v59
	v_mov_b32_e32 v50, v56
	;; [unrolled: 1-line block ×3, first 2 shown]
	v_mul_f32_e32 v59, 0xbf5db3d7, v57
	v_mov_b32_e32 v48, v42
	v_mul_f32_e32 v42, 0x3f5db3d7, v44
	v_fmac_f32_e32 v59, 0.5, v44
	v_pk_mul_f32 v[44:45], v[50:51], 0.5 op_sel_hi:[1,0]
	v_pk_add_f32 v[66:67], v[40:41], v[46:47]
	v_pk_fma_f32 v[44:45], v[50:51], s[16:17], v[44:45] op_sel:[0,0,1] op_sel_hi:[1,1,0] neg_lo:[0,0,1] neg_hi:[0,0,1]
	v_fmac_f32_e32 v42, 0.5, v57
	v_pk_add_f32 v[50:51], v[48:49], v[44:45]
	v_pk_add_f32 v[40:41], v[40:41], v[46:47] neg_lo:[0,1] neg_hi:[0,1]
	v_add_f32_e32 v56, v58, v42
	v_add_f32_e32 v57, v43, v59
	v_sub_f32_e32 v42, v58, v42
	v_sub_f32_e32 v43, v43, v59
	ds_write2_b64 v204, v[50:51], v[40:41] offset0:36 offset1:54
	v_pk_add_f32 v[40:41], v[48:49], v[44:45] neg_lo:[0,1] neg_hi:[0,1]
	ds_write2_b64 v204, v[66:67], v[56:57] offset1:18
	ds_write2_b64 v204, v[42:43], v[40:41] offset0:72 offset1:90
	s_and_saveexec_b64 s[16:17], s[2:3]
	s_cbranch_execz .LBB0_15
; %bb.14:
	v_pk_add_f32 v[44:45], v[72:73], v[74:75]
	v_pk_add_f32 v[46:47], v[76:77], v[84:85]
	v_mad_legacy_u16 v40, v163, s18, v165
	v_pk_add_f32 v[44:45], v[44:45], v[82:83]
	v_pk_add_f32 v[46:47], v[46:47], v[88:89]
	v_lshlrev_b32_e32 v50, 3, v40
	v_pk_add_f32 v[40:41], v[68:69], v[86:87]
	v_pk_add_f32 v[48:49], v[44:45], v[46:47] op_sel:[0,1] op_sel_hi:[1,0] neg_lo:[0,1] neg_hi:[0,1]
	v_pk_add_f32 v[44:45], v[44:45], v[46:47] op_sel:[0,1] op_sel_hi:[1,0]
	v_pk_add_f32 v[42:43], v[64:65], v[90:91]
	ds_write2_b64 v50, v[44:45], v[40:41] offset1:18
	ds_write2_b64 v50, v[42:43], v[48:49] offset0:36 offset1:54
	ds_write2_b64 v50, v[78:79], v[176:177] offset0:72 offset1:90
.LBB0_15:
	s_or_b64 exec, exec, s[16:17]
	s_movk_i32 s16, 0x78
	v_mov_b64_e32 v[40:41], s[0:1]
	v_mad_u64_u32 v[76:77], s[0:1], v126, s16, v[40:41]
	s_waitcnt lgkmcnt(0)
	s_barrier
	global_load_dwordx4 v[44:47], v[76:77], off offset:840
	global_load_dwordx4 v[40:43], v[76:77], off offset:872
	;; [unrolled: 1-line block ×7, first 2 shown]
	global_load_dwordx2 v[154:155], v[76:77], off offset:952
	ds_read2_b64 v[82:85], v108 offset1:108
	v_add_u32_e32 v86, 0x400, v108
	v_add_u32_e32 v87, 0xc00, v108
	;; [unrolled: 1-line block ×7, first 2 shown]
	ds_read2_b64 v[94:97], v86 offset0:88 offset1:196
	ds_read2_b64 v[98:101], v87 offset0:48 offset1:156
	;; [unrolled: 1-line block ×7, first 2 shown]
	s_waitcnt lgkmcnt(7)
	v_mov_b32_e32 v106, v85
	s_waitcnt lgkmcnt(5)
	v_mov_b32_e32 v107, v101
	v_mov_b32_e32 v198, v95
	s_waitcnt lgkmcnt(4)
	v_mov_b32_e32 v199, v103
	v_mov_b32_e32 v200, v103
	;; [unrolled: 1-line block ×3, first 2 shown]
	s_waitcnt lgkmcnt(3)
	v_mov_b32_e32 v206, v181
	v_mov_b32_e32 v209, v181
	;; [unrolled: 1-line block ×9, first 2 shown]
	s_waitcnt lgkmcnt(1)
	v_mov_b32_e32 v207, v191
	v_mov_b32_e32 v208, v191
	;; [unrolled: 1-line block ×6, first 2 shown]
	s_add_u32 s0, s14, 0x3600
	s_mov_b32 s14, 0x3f3504f3
	s_mov_b32 s16, 0x3f6c835e
	s_mov_b32 s18, 0x3ec3ef15
	s_addc_u32 s1, s15, 0
	s_waitcnt vmcnt(7)
	v_mov_b32_e32 v212, v45
	s_waitcnt vmcnt(6)
	v_mov_b32_e32 v213, v41
	s_waitcnt vmcnt(5)
	v_mov_b32_e32 v80, v57
	v_pk_mul_f32 v[226:227], v[184:185], v[56:57] op_sel:[1,0] op_sel_hi:[0,1]
	v_mov_b32_e32 v220, v47
	v_mov_b32_e32 v221, v43
	;; [unrolled: 1-line block ×4, first 2 shown]
	v_pk_mul_f32 v[106:107], v[106:107], v[212:213]
	v_pk_mul_f32 v[212:213], v[184:185], v[80:81] op_sel:[1,0] op_sel_hi:[0,1]
	v_mov_b32_e32 v181, v226
	s_waitcnt vmcnt(4)
	v_mov_b32_e32 v230, v65
	s_waitcnt vmcnt(3)
	v_mov_b32_e32 v231, v49
	v_pk_mul_f32 v[198:199], v[198:199], v[220:221]
	v_pk_mul_f32 v[102:103], v[102:103], v[224:225]
	v_pk_fma_f32 v[212:213], v[184:185], v[56:57], v[212:213] neg_lo:[0,0,1] neg_hi:[0,0,1]
	v_pk_fma_f32 v[184:185], v[184:185], v[56:57], v[180:181] op_sel:[1,0,0] op_sel_hi:[0,1,1]
	v_mov_b32_e32 v180, v49
	v_mov_b32_e32 v181, v65
	;; [unrolled: 1-line block ×3, first 2 shown]
	s_waitcnt lgkmcnt(0)
	v_mov_b32_e32 v221, v193
	v_mov_b32_e32 v224, v67
	;; [unrolled: 1-line block ×3, first 2 shown]
	v_pk_mul_f32 v[206:207], v[206:207], v[230:231]
	v_pk_mul_f32 v[180:181], v[190:191], v[180:181]
	v_mov_b32_e32 v190, v182
	v_pk_mul_f32 v[220:221], v[220:221], v[224:225]
	v_mov_b32_e32 v224, v193
	v_mov_b32_e32 v225, v183
	;; [unrolled: 1-line block ×5, first 2 shown]
	s_waitcnt vmcnt(0)
	v_mov_b32_e32 v80, v155
	v_pk_mul_f32 v[230:231], v[194:195], v[154:155] op_sel:[1,0] op_sel_hi:[0,1]
	v_mov_b32_e32 v191, v192
	v_pk_mul_f32 v[182:183], v[192:193], v[182:183]
	v_pk_mul_f32 v[192:193], v[194:195], v[80:81] op_sel:[1,0] op_sel_hi:[0,1]
	v_mov_b32_e32 v80, v231
	v_pk_fma_f32 v[192:193], v[194:195], v[154:155], v[192:193] neg_lo:[0,0,1] neg_hi:[0,0,1]
	v_pk_fma_f32 v[194:195], v[194:195], v[154:155], v[80:81] op_sel:[1,0,0] op_sel_hi:[0,1,1]
	v_mov_b32_e32 v80, v75
	v_mov_b32_e32 v216, v41
	;; [unrolled: 1-line block ×3, first 2 shown]
	v_pk_mul_f32 v[230:231], v[98:99], v[80:81] op_sel_hi:[1,0]
	v_mov_b32_e32 v214, v40
	v_mov_b32_e32 v215, v44
	v_mov_b32_e32 v222, v42
	v_mov_b32_e32 v223, v46
	v_pk_mul_f32 v[100:101], v[100:101], v[216:217]
	v_pk_fma_f32 v[234:235], v[98:99], v[74:75], v[230:231] op_sel:[1,0,0] op_sel_hi:[0,1,1]
	v_pk_fma_f32 v[98:99], v[98:99], v[74:75], v[230:231] op_sel:[1,0,0] op_sel_hi:[0,0,1] neg_lo:[0,0,1] neg_hi:[0,0,1]
	v_mov_b32_e32 v80, v71
	v_mov_b32_e32 v210, v44
	;; [unrolled: 1-line block ×4, first 2 shown]
	v_pk_fma_f32 v[98:99], v[196:197], v[214:215], v[100:101]
	v_pk_fma_f32 v[100:101], v[200:201], v[222:223], v[102:103]
	v_pk_mul_f32 v[102:103], v[178:179], v[80:81] op_sel_hi:[1,0]
	v_pk_fma_f32 v[76:77], v[76:77], v[210:211], v[106:107] neg_lo:[0,0,1] neg_hi:[0,0,1]
	v_pk_fma_f32 v[106:107], v[178:179], v[70:71], v[102:103] op_sel:[0,0,1] op_sel_hi:[1,1,0] neg_lo:[0,0,1] neg_hi:[0,0,1]
	v_pk_fma_f32 v[102:103], v[178:179], v[70:71], v[102:103] op_sel:[0,0,1] op_sel_hi:[1,0,0]
	v_mov_b32_e32 v80, v59
	v_mov_b32_e32 v107, v103
	v_pk_mul_f32 v[102:103], v[188:189], v[80:81] op_sel_hi:[1,0]
	v_mov_b32_e32 v218, v46
	v_mov_b32_e32 v219, v42
	;; [unrolled: 1-line block ×8, first 2 shown]
	v_pk_fma_f32 v[178:179], v[188:189], v[58:59], v[102:103] op_sel:[1,0,0] op_sel_hi:[0,1,1]
	v_pk_fma_f32 v[102:103], v[188:189], v[58:59], v[102:103] op_sel:[1,0,0] op_sel_hi:[0,0,1] neg_lo:[0,0,1] neg_hi:[0,0,1]
	v_pk_fma_f32 v[84:85], v[84:85], v[218:219], v[198:199] neg_lo:[0,0,1] neg_hi:[0,0,1]
	v_mov_b32_e32 v179, v103
	v_pk_fma_f32 v[102:103], v[208:209], v[232:233], v[180:181]
	v_pk_fma_f32 v[180:181], v[190:191], v[216:217], v[220:221] neg_lo:[0,0,1] neg_hi:[0,0,1]
	v_pk_fma_f32 v[182:183], v[224:225], v[226:227], v[182:183]
	v_pk_add_f32 v[106:107], v[82:83], v[106:107] neg_lo:[0,1] neg_hi:[0,1]
	v_pk_add_f32 v[178:179], v[234:235], v[178:179] neg_lo:[0,1] neg_hi:[0,1]
	;; [unrolled: 1-line block ×4, first 2 shown]
	v_mov_b32_e32 v213, v192
	v_mov_b32_e32 v195, v185
	v_pk_add_f32 v[184:185], v[106:107], v[178:179] neg_lo:[0,1] neg_hi:[0,1]
	v_pk_add_f32 v[188:189], v[106:107], v[178:179]
	v_pk_add_f32 v[190:191], v[180:181], v[182:183] neg_lo:[0,1] neg_hi:[0,1]
	v_pk_add_f32 v[192:193], v[180:181], v[182:183]
	v_mov_b32_e32 v185, v189
	v_mov_b32_e32 v191, v193
	v_mov_b32_e32 v228, v64
	v_mov_b32_e32 v229, v48
	v_pk_mul_f32 v[198:199], v[190:191], s[14:15] op_sel_hi:[1,0]
	v_pk_fma_f32 v[200:201], v[190:191], s[14:15], v[184:185] op_sel_hi:[1,0,1]
	v_pk_fma_f32 v[94:95], v[94:95], v[228:229], v[206:207] neg_lo:[0,0,1] neg_hi:[0,0,1]
	v_pk_add_f32 v[206:207], v[200:201], v[198:199] op_sel:[0,1] op_sel_hi:[1,0] neg_lo:[0,1] neg_hi:[0,1]
	v_pk_add_f32 v[198:199], v[200:201], v[198:199] op_sel:[0,1] op_sel_hi:[1,0]
	v_mov_b32_e32 v188, v180
	v_fma_f32 v162, v189, 2.0, -v199
	v_mov_b32_e32 v189, v183
	v_fma_f32 v160, v184, 2.0, -v206
	v_pk_fma_f32 v[184:185], v[106:107], 2.0, v[184:185] op_sel_hi:[1,0,1] neg_lo:[0,0,1] neg_hi:[0,0,1]
	v_pk_fma_f32 v[188:189], v[188:189], 2.0, v[190:191] op_sel_hi:[1,0,1] neg_lo:[0,0,1] neg_hi:[0,0,1]
	v_mov_b32_e32 v80, v73
	v_pk_mul_f32 v[200:201], v[188:189], s[14:15] op_sel_hi:[1,0]
	v_pk_fma_f32 v[188:189], v[188:189], s[14:15], v[184:185] op_sel_hi:[1,0,1] neg_lo:[1,0,0] neg_hi:[1,0,0]
	v_pk_add_f32 v[94:95], v[76:77], v[94:95] neg_lo:[0,1] neg_hi:[0,1]
	v_pk_add_f32 v[208:209], v[188:189], v[200:201] op_sel:[0,1] op_sel_hi:[1,0] neg_lo:[0,1] neg_hi:[0,1]
	v_pk_add_f32 v[188:189], v[188:189], v[200:201] op_sel:[0,1] op_sel_hi:[1,0]
	v_fma_f32 v164, v184, 2.0, -v208
	v_fma_f32 v166, v185, 2.0, -v189
	v_pk_mul_f32 v[184:185], v[96:97], v[72:73] op_sel_hi:[1,0]
	v_mov_b32_e32 v209, v189
	v_pk_fma_f32 v[188:189], v[96:97], v[80:81], v[184:185] op_sel:[0,0,1] op_sel_hi:[1,1,0]
	v_pk_fma_f32 v[96:97], v[96:97], v[72:73], v[184:185] op_sel:[0,1,1] op_sel_hi:[1,1,0] neg_lo:[1,0,0] neg_hi:[1,0,0]
	v_pk_mul_f32 v[184:185], v[104:105], v[68:69] op_sel_hi:[1,0]
	v_mov_b32_e32 v80, v69
	v_pk_add_f32 v[102:103], v[98:99], v[102:103] neg_lo:[0,1] neg_hi:[0,1]
	v_pk_fma_f32 v[200:201], v[104:105], v[80:81], v[184:185] op_sel:[0,0,1] op_sel_hi:[1,1,0]
	v_pk_fma_f32 v[104:105], v[104:105], v[68:69], v[184:185] op_sel:[0,1,1] op_sel_hi:[1,1,0] neg_lo:[1,0,0] neg_hi:[1,0,0]
	v_pk_fma_f32 v[82:83], v[82:83], 2.0, v[106:107] op_sel_hi:[1,0,1] neg_lo:[0,0,1] neg_hi:[0,0,1]
	v_pk_fma_f32 v[106:107], v[234:235], 2.0, v[178:179] op_sel_hi:[1,0,1] neg_lo:[0,0,1] neg_hi:[0,0,1]
	v_mov_b32_e32 v178, v101
	v_mov_b32_e32 v184, v183
	;; [unrolled: 1-line block ×4, first 2 shown]
	v_pk_add_f32 v[192:193], v[94:95], v[102:103] neg_lo:[0,1] neg_hi:[0,1]
	v_pk_add_f32 v[196:197], v[94:95], v[102:103]
	v_mov_b32_e32 v190, v94
	v_mov_b32_e32 v191, v103
	;; [unrolled: 1-line block ×4, first 2 shown]
	v_pk_fma_f32 v[84:85], v[100:101], 2.0, v[182:183] op_sel_hi:[1,0,1] neg_lo:[0,0,1] neg_hi:[0,0,1]
	v_mov_b32_e32 v100, v76
	v_mov_b32_e32 v101, v99
	;; [unrolled: 1-line block ×10, first 2 shown]
	v_pk_fma_f32 v[100:101], v[100:101], 2.0, v[190:191] op_sel_hi:[1,0,1] neg_lo:[0,0,1] neg_hi:[0,0,1]
	v_pk_fma_f32 v[76:77], v[76:77], 2.0, v[94:95] op_sel_hi:[1,0,1] neg_lo:[0,0,1] neg_hi:[0,0,1]
	v_pk_add_f32 v[94:95], v[104:105], v[212:213] neg_lo:[0,1] neg_hi:[0,1]
	v_pk_add_f32 v[96:97], v[96:97], v[194:195] neg_lo:[0,1] neg_hi:[0,1]
	v_mov_b32_e32 v201, v105
	v_pk_fma_f32 v[178:179], v[178:179], 2.0, v[184:185] op_sel_hi:[1,0,1] neg_lo:[0,0,1] neg_hi:[0,0,1]
	v_mov_b32_e32 v98, v97
	v_mov_b32_e32 v99, v94
	v_mov_b32_e32 v102, v96
	v_mov_b32_e32 v103, v95
	v_pk_add_f32 v[104:105], v[82:83], v[106:107] op_sel:[0,1] op_sel_hi:[1,0] neg_lo:[0,1] neg_hi:[0,1]
	v_pk_add_f32 v[106:107], v[100:101], v[76:77] neg_lo:[0,1] neg_hi:[0,1]
	v_pk_add_f32 v[180:181], v[94:95], v[96:97] neg_lo:[0,1] neg_hi:[0,1]
	v_pk_add_f32 v[76:77], v[94:95], v[96:97]
	v_mov_b32_e32 v193, v197
	v_pk_fma_f32 v[98:99], v[188:189], 2.0, v[98:99] op_sel_hi:[1,0,1] neg_lo:[0,0,1] neg_hi:[0,0,1]
	v_pk_fma_f32 v[102:103], v[200:201], 2.0, v[102:103] op_sel_hi:[1,0,1] neg_lo:[0,0,1] neg_hi:[0,0,1]
	v_pk_add_f32 v[84:85], v[178:179], v[84:85] neg_lo:[0,1] neg_hi:[0,1]
	v_mov_b32_e32 v181, v77
	v_mov_b32_e32 v95, v97
	v_mov_b32_e32 v207, v199
	v_pk_fma_f32 v[198:199], v[190:191], 2.0, v[192:193] op_sel_hi:[1,0,1] neg_lo:[0,0,1] neg_hi:[0,0,1]
	v_pk_add_f32 v[102:103], v[98:99], v[102:103] neg_lo:[0,1] neg_hi:[0,1]
	v_pk_add_f32 v[182:183], v[104:105], v[84:85] neg_lo:[0,1] neg_hi:[0,1]
	v_pk_add_f32 v[76:77], v[104:105], v[84:85]
	v_pk_fma_f32 v[94:95], v[94:95], 2.0, v[180:181] op_sel_hi:[1,0,1] neg_lo:[0,0,1] neg_hi:[0,0,1]
	v_mov_b32_e32 v183, v77
	v_pk_add_f32 v[184:185], v[106:107], v[102:103] neg_lo:[0,1] neg_hi:[0,1]
	v_pk_add_f32 v[76:77], v[106:107], v[102:103]
	v_pk_mul_f32 v[96:97], v[94:95], s[14:15] op_sel_hi:[1,0]
	v_pk_fma_f32 v[94:95], v[94:95], s[14:15], v[198:199] op_sel_hi:[1,0,1] neg_lo:[1,0,0] neg_hi:[1,0,0]
	v_mov_b32_e32 v185, v77
	v_pk_mul_f32 v[76:77], v[180:181], s[14:15] op_sel_hi:[1,0]
	v_pk_fma_f32 v[188:189], v[180:181], s[14:15], v[192:193] op_sel_hi:[1,0,1]
	v_pk_add_f32 v[180:181], v[94:95], v[96:97] op_sel:[0,1] op_sel_hi:[1,0] neg_lo:[0,1] neg_hi:[0,1]
	v_pk_add_f32 v[94:95], v[94:95], v[96:97] op_sel:[0,1] op_sel_hi:[1,0]
	v_pk_fma_f32 v[82:83], v[82:83], 2.0, v[104:105] op_sel_hi:[1,0,1] neg_lo:[0,0,1] neg_hi:[0,0,1]
	v_pk_fma_f32 v[84:85], v[178:179], 2.0, v[84:85] op_sel_hi:[1,0,1] neg_lo:[0,0,1] neg_hi:[0,0,1]
	;; [unrolled: 1-line block ×4, first 2 shown]
	v_fma_f32 v80, v198, 2.0, -v180
	v_fma_f32 v96, v199, 2.0, -v95
	v_pk_add_f32 v[84:85], v[82:83], v[84:85] op_sel:[0,1] op_sel_hi:[1,0] neg_lo:[0,1] neg_hi:[0,1]
	v_pk_add_f32 v[98:99], v[100:101], v[98:99] op_sel:[0,1] op_sel_hi:[1,0] neg_lo:[0,1] neg_hi:[0,1]
	v_mov_b32_e32 v181, v95
	v_fmamk_f32 v94, v80, 0xbf6c835e, v164
	v_fmamk_f32 v95, v96, 0xbf6c835e, v166
	v_pk_fma_f32 v[82:83], v[82:83], 2.0, v[84:85] op_sel_hi:[1,0,1] neg_lo:[0,0,1] neg_hi:[0,0,1]
	v_pk_fma_f32 v[100:101], v[100:101], 2.0, v[98:99] op_sel_hi:[1,0,1] neg_lo:[0,0,1] neg_hi:[0,0,1]
	v_pk_add_f32 v[190:191], v[188:189], v[76:77] op_sel:[0,1] op_sel_hi:[1,0] neg_lo:[0,1] neg_hi:[0,1]
	v_pk_add_f32 v[76:77], v[188:189], v[76:77] op_sel:[0,1] op_sel_hi:[1,0]
	v_fmac_f32_e32 v94, 0xbec3ef15, v96
	v_fmac_f32_e32 v95, 0x3ec3ef15, v80
	v_pk_add_f32 v[100:101], v[82:83], v[100:101] neg_lo:[0,1] neg_hi:[0,1]
	v_mov_b32_e32 v191, v77
	v_fma_f32 v76, v192, 2.0, -v190
	v_fma_f32 v77, v197, 2.0, -v77
	v_fma_f32 v96, v164, 2.0, -v94
	v_fma_f32 v97, v166, 2.0, -v95
	v_pk_fma_f32 v[82:83], v[82:83], 2.0, v[100:101] op_sel_hi:[1,0,1] neg_lo:[0,0,1] neg_hi:[0,0,1]
	v_fmamk_f32 v188, v76, 0xbec3ef15, v160
	v_fmamk_f32 v189, v77, 0xbec3ef15, v162
	ds_write2_b64 v108, v[82:83], v[96:97] offset1:108
	v_pk_fma_f32 v[82:83], v[104:105], 2.0, v[182:183] op_sel_hi:[1,0,1] neg_lo:[0,0,1] neg_hi:[0,0,1]
	v_pk_fma_f32 v[96:97], v[106:107], 2.0, v[184:185] op_sel_hi:[1,0,1] neg_lo:[0,0,1] neg_hi:[0,0,1]
	v_fmac_f32_e32 v188, 0xbf6c835e, v77
	v_fmac_f32_e32 v189, 0x3f6c835e, v76
	v_pk_mul_f32 v[76:77], v[184:185], s[14:15] op_sel_hi:[1,0]
	v_pk_fma_f32 v[194:195], v[184:185], s[14:15], v[182:183] op_sel_hi:[1,0,1]
	v_pk_mul_f32 v[102:103], v[96:97], s[14:15] op_sel_hi:[1,0]
	v_pk_fma_f32 v[96:97], v[96:97], s[14:15], v[82:83] op_sel_hi:[1,0,1] neg_lo:[1,0,0] neg_hi:[1,0,0]
	v_pk_add_f32 v[196:197], v[194:195], v[76:77] op_sel:[0,1] op_sel_hi:[1,0] neg_lo:[0,1] neg_hi:[0,1]
	v_pk_add_f32 v[76:77], v[194:195], v[76:77] op_sel:[0,1] op_sel_hi:[1,0]
	v_pk_fma_f32 v[200:201], v[190:191], s[16:17], v[206:207] op_sel_hi:[1,0,1]
	v_pk_mul_f32 v[190:191], v[190:191], s[18:19] op_sel_hi:[1,0]
	v_pk_add_f32 v[104:105], v[96:97], v[102:103] op_sel:[0,1] op_sel_hi:[1,0] neg_lo:[0,1] neg_hi:[0,1]
	v_pk_add_f32 v[96:97], v[96:97], v[102:103] op_sel:[0,1] op_sel_hi:[1,0]
	v_mov_b32_e32 v197, v77
	v_pk_add_f32 v[76:77], v[200:201], v[190:191] op_sel:[0,1] op_sel_hi:[1,0] neg_lo:[0,1] neg_hi:[0,1]
	v_pk_add_f32 v[190:191], v[200:201], v[190:191] op_sel:[0,1] op_sel_hi:[1,0]
	v_mov_b32_e32 v105, v97
	v_fma_f32 v192, v160, 2.0, -v188
	v_fma_f32 v193, v162, 2.0, -v189
	v_mov_b32_e32 v77, v191
	v_pk_fma_f32 v[190:191], v[180:181], s[18:19], v[208:209] op_sel_hi:[1,0,1]
	v_pk_mul_f32 v[180:181], v[180:181], s[16:17] op_sel_hi:[1,0]
	v_pk_fma_f32 v[82:83], v[82:83], 2.0, v[104:105] op_sel_hi:[1,0,1] neg_lo:[0,0,1] neg_hi:[0,0,1]
	v_pk_add_f32 v[198:199], v[190:191], v[180:181] op_sel:[0,1] op_sel_hi:[1,0] neg_lo:[0,1] neg_hi:[0,1]
	v_pk_add_f32 v[180:181], v[190:191], v[180:181] op_sel:[0,1] op_sel_hi:[1,0]
	ds_write2_b64 v86, v[82:83], v[192:193] offset0:88 offset1:196
	ds_write2_b64 v90, v[104:105], v[188:189] offset0:56 offset1:164
	v_pk_add_f32 v[82:83], v[84:85], v[98:99] op_sel:[0,1] op_sel_hi:[1,0] neg_lo:[0,1] neg_hi:[0,1]
	v_pk_add_f32 v[96:97], v[84:85], v[98:99] op_sel:[0,1] op_sel_hi:[1,0]
	v_mov_b32_e32 v199, v181
	v_mov_b32_e32 v83, v97
	v_pk_fma_f32 v[180:181], v[208:209], 2.0, v[198:199] op_sel_hi:[1,0,1] neg_lo:[0,0,1] neg_hi:[0,0,1]
	v_pk_fma_f32 v[84:85], v[84:85], 2.0, v[82:83] op_sel_hi:[1,0,1] neg_lo:[0,0,1] neg_hi:[0,0,1]
	v_lshlrev_b32_e32 v80, 3, v126
	v_pk_fma_f32 v[194:195], v[182:183], 2.0, v[196:197] op_sel_hi:[1,0,1] neg_lo:[0,0,1] neg_hi:[0,0,1]
	v_pk_fma_f32 v[190:191], v[206:207], 2.0, v[76:77] op_sel_hi:[1,0,1] neg_lo:[0,0,1] neg_hi:[0,0,1]
	ds_write2_b64 v87, v[84:85], v[180:181] offset0:48 offset1:156
	ds_write2_b64 v93, v[194:195], v[190:191] offset0:136 offset1:244
	;; [unrolled: 1-line block ×5, first 2 shown]
	s_waitcnt lgkmcnt(0)
	s_barrier
	global_load_dwordx2 v[98:99], v80, s[0:1]
	s_movk_i32 s14, 0x1000
	v_lshl_add_u64 v[82:83], s[0:1], 0, v[80:81]
	v_add_co_u32_e32 v94, vcc, s14, v82
	s_movk_i32 s14, 0x2000
	s_nop 0
	v_addc_co_u32_e32 v95, vcc, 0, v83, vcc
	global_load_dwordx2 v[106:107], v[94:95], off offset:512
	global_load_dwordx2 v[178:179], v[94:95], off offset:1376
	;; [unrolled: 1-line block ×3, first 2 shown]
	global_load_dwordx2 v[182:183], v92, s[0:1]
	global_load_dwordx2 v[184:185], v80, s[0:1] offset:864
	v_add_co_u32_e32 v84, vcc, s14, v82
	v_mov_b32_e32 v164, v41
	s_nop 0
	v_addc_co_u32_e32 v85, vcc, 0, v83, vcc
	global_load_dwordx2 v[188:189], v[84:85], off offset:1888
	global_load_dwordx2 v[190:191], v80, s[0:1] offset:1728
	global_load_dwordx2 v[192:193], v[84:85], off offset:2752
	global_load_dwordx2 v[194:195], v80, s[0:1] offset:2592
	global_load_dwordx2 v[196:197], v[94:95], off offset:3104
	global_load_dwordx2 v[198:199], v[84:85], off offset:3616
	s_nop 0
	global_load_dwordx2 v[80:81], v80, s[0:1] offset:3456
	v_add_co_u32_e32 v100, vcc, 0x3000, v82
	global_load_dwordx2 v[200:201], v[94:95], off offset:3968
	s_nop 0
	v_addc_co_u32_e32 v101, vcc, 0, v83, vcc
	global_load_dwordx2 v[206:207], v[100:101], off offset:384
	ds_read2_b64 v[94:97], v108 offset1:108
	v_mov_b32_e32 v174, v43
	v_mov_b32_e32 v172, v45
	;; [unrolled: 1-line block ×7, first 2 shown]
	s_waitcnt vmcnt(14) lgkmcnt(0)
	v_mul_f32_e32 v41, v95, v99
	v_mul_f32_e32 v101, v94, v99
	v_fma_f32 v100, v94, v98, -v41
	v_fmac_f32_e32 v101, v95, v98
	ds_write_b64 v108, v[100:101]
	ds_read2_b64 v[98:101], v87 offset0:48 offset1:192
	ds_read2_b64 v[102:105], v90 offset0:128 offset1:236
	s_waitcnt vmcnt(9)
	v_mul_f32_e32 v43, v97, v185
	s_waitcnt lgkmcnt(1)
	v_mul_f32_e32 v41, v101, v107
	v_fma_f32 v94, v100, v106, -v41
	s_waitcnt lgkmcnt(0)
	v_mul_f32_e32 v41, v103, v183
	v_mul_f32_e32 v95, v100, v107
	v_fma_f32 v208, v102, v182, -v41
	v_mul_f32_e32 v209, v102, v183
	v_add_u32_e32 v41, 0x1400, v108
	v_fmac_f32_e32 v95, v101, v106
	v_fmac_f32_e32 v209, v103, v182
	ds_read2_b64 v[100:103], v41 offset0:44 offset1:152
	v_mul_f32_e32 v107, v96, v185
	v_fma_f32 v106, v96, v184, -v43
	v_fmac_f32_e32 v107, v97, v184
	s_waitcnt lgkmcnt(0)
	v_mul_f32_e32 v43, v101, v179
	v_mul_f32_e32 v97, v100, v179
	v_fma_f32 v96, v100, v178, -v43
	v_fmac_f32_e32 v97, v101, v178
	ds_write2_b64 v93, v[94:95], v[96:97] offset0:64 offset1:172
	ds_read2_b64 v[92:95], v86 offset0:88 offset1:196
	s_waitcnt vmcnt(8)
	v_mul_f32_e32 v43, v105, v189
	v_fma_f32 v96, v104, v188, -v43
	v_mul_f32_e32 v97, v104, v189
	v_fmac_f32_e32 v97, v105, v188
	s_waitcnt vmcnt(7) lgkmcnt(0)
	v_mul_f32_e32 v43, v93, v191
	v_mul_f32_e32 v101, v92, v191
	v_fma_f32 v100, v92, v190, -v43
	v_fmac_f32_e32 v101, v93, v190
	ds_write2_b64 v108, v[106:107], v[100:101] offset0:108 offset1:216
	ds_read2_b64 v[104:107], v89 offset0:88 offset1:196
	v_mul_f32_e32 v43, v103, v181
	v_fma_f32 v92, v102, v180, -v43
	v_mul_f32_e32 v93, v102, v181
	v_fmac_f32_e32 v93, v103, v180
	s_waitcnt vmcnt(6) lgkmcnt(0)
	v_mul_f32_e32 v43, v105, v193
	v_mul_f32_e32 v101, v104, v193
	v_fma_f32 v100, v104, v192, -v43
	v_fmac_f32_e32 v101, v105, v192
	v_add_u32_e32 v43, 0x2400, v108
	ds_write2_b64 v43, v[96:97], v[100:101] offset0:108 offset1:216
	ds_read2_b64 v[100:103], v88 offset0:132 offset1:240
	s_waitcnt vmcnt(5)
	v_mul_f32_e32 v43, v95, v195
	v_mul_f32_e32 v97, v94, v195
	v_fma_f32 v96, v94, v194, -v43
	v_fmac_f32_e32 v97, v95, v194
	s_waitcnt vmcnt(4) lgkmcnt(0)
	v_mul_f32_e32 v43, v101, v197
	v_mul_f32_e32 v95, v100, v197
	v_fma_f32 v94, v100, v196, -v43
	v_fmac_f32_e32 v95, v101, v196
	s_waitcnt vmcnt(3)
	v_mul_f32_e32 v43, v107, v199
	ds_write2_b64 v88, v[92:93], v[94:95] offset0:24 offset1:132
	v_fma_f32 v92, v106, v198, -v43
	s_waitcnt vmcnt(2)
	v_mul_f32_e32 v43, v99, v81
	v_mul_f32_e32 v95, v98, v81
	v_fma_f32 v94, v98, v80, -v43
	v_fmac_f32_e32 v95, v99, v80
	v_add_u32_e32 v43, 0x800, v108
	ds_write2_b64 v43, v[96:97], v[94:95] offset0:68 offset1:176
	ds_read_b64 v[94:95], v108 offset:12672
	s_waitcnt vmcnt(1)
	v_mul_f32_e32 v43, v103, v201
	v_mul_f32_e32 v81, v102, v201
	v_fma_f32 v80, v102, v200, -v43
	v_fmac_f32_e32 v81, v103, v200
	v_add_u32_e32 v43, 0x1e00, v108
	v_mul_f32_e32 v93, v106, v199
	ds_write2_b64 v43, v[80:81], v[208:209] offset0:48 offset1:192
	s_waitcnt vmcnt(0) lgkmcnt(1)
	v_mul_f32_e32 v43, v95, v207
	v_mul_f32_e32 v81, v94, v207
	v_fmac_f32_e32 v93, v107, v198
	v_fma_f32 v80, v94, v206, -v43
	v_fmac_f32_e32 v81, v95, v206
	ds_write2_b64 v91, v[92:93], v[80:81] offset0:68 offset1:176
	s_and_saveexec_b64 s[0:1], s[6:7]
	s_cbranch_execz .LBB0_17
; %bb.16:
	v_add_co_u32_e32 v80, vcc, 0x1000, v82
	v_add_u32_e32 v43, 0xe0, v108
	s_nop 0
	v_addc_co_u32_e32 v81, vcc, 0, v83, vcc
	global_load_dwordx2 v[92:93], v[80:81], off offset:224
	v_add_co_u32_e32 v80, vcc, 0x3000, v82
	s_nop 1
	v_addc_co_u32_e32 v81, vcc, 0, v83, vcc
	global_load_dwordx2 v[94:95], v[80:81], off offset:1248
	s_nop 0
	global_load_dwordx2 v[84:85], v[84:85], off offset:736
	ds_read2st64_b64 v[80:83], v43 offset0:8 offset1:17
	ds_read_b64 v[96:97], v108 offset:13536
	s_waitcnt vmcnt(2) lgkmcnt(1)
	v_mul_f32_e32 v45, v81, v93
	v_mul_f32_e32 v99, v80, v93
	v_fma_f32 v98, v80, v92, -v45
	v_fmac_f32_e32 v99, v81, v92
	s_waitcnt vmcnt(1) lgkmcnt(0)
	v_mul_f32_e32 v47, v97, v95
	s_waitcnt vmcnt(0)
	v_mul_f32_e32 v45, v83, v85
	v_mul_f32_e32 v81, v82, v85
	;; [unrolled: 1-line block ×3, first 2 shown]
	v_fma_f32 v80, v82, v84, -v45
	v_fmac_f32_e32 v81, v83, v84
	v_fma_f32 v84, v96, v94, -v47
	v_fmac_f32_e32 v85, v97, v94
	ds_write2st64_b64 v43, v[98:99], v[80:81] offset0:8 offset1:17
	ds_write_b64 v108, v[84:85] offset:13536
.LBB0_17:
	s_or_b64 exec, exec, s[0:1]
	s_waitcnt lgkmcnt(0)
	s_barrier
	ds_read2_b64 v[96:99], v108 offset1:108
	ds_read2_b64 v[104:107], v87 offset0:48 offset1:192
	ds_read2_b64 v[100:103], v90 offset0:128 offset1:236
	;; [unrolled: 1-line block ×6, first 2 shown]
	ds_read_b64 v[180:181], v108 offset:12672
	s_and_saveexec_b64 s[0:1], s[6:7]
	s_cbranch_execz .LBB0_19
; %bb.18:
	v_add_u32_e32 v41, 0xe0, v108
	ds_read2st64_b64 v[76:79], v41 offset0:8 offset1:17
	ds_read_b64 v[176:177], v108 offset:13536
.LBB0_19:
	s_or_b64 exec, exec, s[0:1]
	s_waitcnt lgkmcnt(1)
	v_pk_add_f32 v[178:179], v[104:105], v[90:91]
	s_waitcnt lgkmcnt(0)
	v_pk_add_f32 v[182:183], v[90:91], v[180:181]
	v_pk_add_f32 v[90:91], v[90:91], v[180:181] neg_lo:[0,1] neg_hi:[0,1]
	s_mov_b32 s0, 0x3f5db3d7
	v_pk_fma_f32 v[104:105], v[182:183], 0.5, v[104:105] op_sel_hi:[1,0,1] neg_lo:[1,0,0] neg_hi:[1,0,0]
	v_pk_mul_f32 v[90:91], v[90:91], s[0:1] op_sel_hi:[1,0]
	v_pk_add_f32 v[178:179], v[178:179], v[180:181]
	v_pk_add_f32 v[182:183], v[104:105], v[90:91] op_sel:[0,1] op_sel_hi:[1,0]
	v_pk_add_f32 v[184:185], v[104:105], v[90:91] op_sel:[0,1] op_sel_hi:[1,0] neg_lo:[0,1] neg_hi:[0,1]
	v_pk_add_f32 v[90:91], v[76:77], v[78:79]
	v_pk_add_f32 v[188:189], v[96:97], v[106:107]
	;; [unrolled: 1-line block ×4, first 2 shown]
	v_pk_add_f32 v[78:79], v[78:79], v[176:177] neg_lo:[0,1] neg_hi:[0,1]
	v_pk_fma_f32 v[76:77], v[90:91], 0.5, v[76:77] op_sel_hi:[1,0,1] neg_lo:[1,0,0] neg_hi:[1,0,0]
	v_pk_add_f32 v[90:91], v[106:107], v[100:101] neg_lo:[0,1] neg_hi:[0,1]
	v_pk_fma_f32 v[104:105], v[78:79], s[0:1], v[76:77] op_sel:[0,0,1] op_sel_hi:[1,0,0]
	v_pk_fma_f32 v[176:177], v[78:79], s[0:1], v[76:77] op_sel:[0,0,1] op_sel_hi:[1,0,0] neg_lo:[1,0,0] neg_hi:[1,0,0]
	v_pk_add_f32 v[78:79], v[106:107], v[100:101]
	v_pk_mul_f32 v[90:91], v[90:91], s[0:1] op_sel_hi:[1,0]
	v_pk_fma_f32 v[78:79], v[78:79], 0.5, v[96:97] op_sel_hi:[1,0,1] neg_lo:[1,0,0] neg_hi:[1,0,0]
	v_pk_add_f32 v[76:77], v[188:189], v[100:101]
	v_pk_add_f32 v[96:97], v[78:79], v[90:91] op_sel:[0,1] op_sel_hi:[1,0] neg_lo:[0,1] neg_hi:[0,1]
	v_pk_add_f32 v[78:79], v[78:79], v[90:91] op_sel:[0,1] op_sel_hi:[1,0]
	v_mov_b32_e32 v90, v96
	v_mov_b32_e32 v91, v79
	;; [unrolled: 1-line block ×3, first 2 shown]
	s_barrier
	ds_write2_b64 v167, v[76:77], v[90:91] offset1:1
	ds_write_b64 v167, v[78:79] offset:16
	v_pk_add_f32 v[78:79], v[92:93], v[102:103]
	v_pk_add_f32 v[90:91], v[92:93], v[102:103] neg_lo:[0,1] neg_hi:[0,1]
	v_pk_fma_f32 v[78:79], v[78:79], 0.5, v[98:99] op_sel_hi:[1,0,1] neg_lo:[1,0,0] neg_hi:[1,0,0]
	v_pk_mul_f32 v[90:91], v[90:91], s[0:1] op_sel_hi:[1,0]
	v_pk_add_f32 v[190:191], v[98:99], v[92:93]
	v_pk_add_f32 v[92:93], v[78:79], v[90:91] op_sel:[0,1] op_sel_hi:[1,0] neg_lo:[0,1] neg_hi:[0,1]
	v_pk_add_f32 v[78:79], v[78:79], v[90:91] op_sel:[0,1] op_sel_hi:[1,0]
	v_pk_add_f32 v[192:193], v[80:81], v[94:95]
	v_mov_b32_e32 v91, v79
	v_mov_b32_e32 v79, v93
	ds_write_b64 v169, v[78:79] offset:16
	v_pk_add_f32 v[78:79], v[94:95], v[84:85]
	v_pk_add_f32 v[76:77], v[190:191], v[102:103]
	v_pk_fma_f32 v[78:79], v[78:79], 0.5, v[80:81] op_sel_hi:[1,0,1] neg_lo:[1,0,0] neg_hi:[1,0,0]
	v_pk_add_f32 v[80:81], v[94:95], v[84:85] neg_lo:[0,1] neg_hi:[0,1]
	v_mov_b32_e32 v90, v92
	v_pk_mul_f32 v[80:81], v[80:81], s[0:1] op_sel_hi:[1,0]
	ds_write2_b64 v169, v[76:77], v[90:91] offset1:1
	v_pk_add_f32 v[76:77], v[192:193], v[84:85]
	v_pk_add_f32 v[84:85], v[78:79], v[80:81] op_sel:[0,1] op_sel_hi:[1,0] neg_lo:[0,1] neg_hi:[0,1]
	v_pk_add_f32 v[78:79], v[78:79], v[80:81] op_sel:[0,1] op_sel_hi:[1,0]
	v_mov_b32_e32 v80, v84
	v_mov_b32_e32 v81, v79
	;; [unrolled: 1-line block ×3, first 2 shown]
	ds_write2_b64 v171, v[76:77], v[80:81] offset1:1
	ds_write_b64 v171, v[78:79] offset:16
	v_pk_add_f32 v[78:79], v[88:89], v[86:87]
	v_pk_add_f32 v[80:81], v[88:89], v[86:87] neg_lo:[0,1] neg_hi:[0,1]
	v_pk_fma_f32 v[78:79], v[78:79], 0.5, v[82:83] op_sel_hi:[1,0,1] neg_lo:[1,0,0] neg_hi:[1,0,0]
	v_pk_mul_f32 v[80:81], v[80:81], s[0:1] op_sel_hi:[1,0]
	v_pk_add_f32 v[194:195], v[82:83], v[88:89]
	v_pk_add_f32 v[82:83], v[78:79], v[80:81] op_sel:[0,1] op_sel_hi:[1,0] neg_lo:[0,1] neg_hi:[0,1]
	v_pk_add_f32 v[78:79], v[78:79], v[80:81] op_sel:[0,1] op_sel_hi:[1,0]
	v_pk_add_f32 v[76:77], v[194:195], v[86:87]
	v_mov_b32_e32 v80, v82
	v_mov_b32_e32 v81, v79
	ds_write2_b64 v173, v[76:77], v[80:81] offset1:1
	v_mov_b32_e32 v79, v83
	v_mov_b32_e32 v76, v184
	;; [unrolled: 1-line block ×3, first 2 shown]
	ds_write_b64 v173, v[78:79] offset:16
	ds_write2_b64 v175, v[178:179], v[76:77] offset1:1
	v_mov_b32_e32 v76, v182
	v_mov_b32_e32 v77, v185
	ds_write_b64 v175, v[76:77] offset:16
	s_and_saveexec_b64 s[0:1], s[6:7]
	s_cbranch_execz .LBB0_21
; %bb.20:
	v_lshlrev_b32_e32 v41, 3, v186
	v_mov_b32_e32 v76, v177
	v_mov_b32_e32 v77, v104
	ds_write2_b64 v41, v[180:181], v[76:77] offset1:1
	v_mov_b32_e32 v76, v105
	v_mov_b32_e32 v77, v176
	ds_write_b64 v41, v[76:77] offset:16
.LBB0_21:
	s_or_b64 exec, exec, s[0:1]
	v_add_u32_e32 v41, 0x800, v108
	s_waitcnt lgkmcnt(0)
	s_barrier
	ds_read2_b64 v[96:99], v41 offset0:32 offset1:140
	v_add_u32_e32 v41, 0x1000, v108
	ds_read2_b64 v[92:95], v41 offset0:64 offset1:172
	v_add_u32_e32 v41, 0x1800, v108
	;; [unrolled: 2-line block ×4, first 2 shown]
	ds_read2_b64 v[76:79], v108 offset1:108
	ds_read2_b64 v[80:83], v41 offset0:32 offset1:140
	s_and_saveexec_b64 s[0:1], s[4:5]
	s_xor_b64 s[0:1], exec, s[0:1]
	s_or_saveexec_b64 s[0:1], s[0:1]
	v_mov_b32_e32 v200, v12
	v_mov_b32_e32 v201, v12
	v_mov_b32_e32 v12, v13
	v_mov_b32_e32 v198, v14
	v_mov_b32_e32 v199, v14
	v_mov_b32_e32 v14, v15
	v_mov_b32_e32 v196, v8
	v_mov_b32_e32 v197, v8
	v_mov_b32_e32 v8, v9
	v_mov_b32_e32 v194, v10
	v_mov_b32_e32 v195, v10
	v_mov_b32_e32 v10, v11
	v_mov_b32_e32 v192, v148
	v_mov_b32_e32 v193, v148
	v_mov_b32_e32 v148, v149
	v_mov_b32_e32 v190, v28
	v_mov_b32_e32 v191, v28
	v_mov_b32_e32 v28, v29
	v_mov_b32_e32 v188, v30
	v_mov_b32_e32 v189, v30
	v_mov_b32_e32 v30, v31
	v_mov_b32_e32 v186, v24
	v_mov_b32_e32 v187, v24
	v_mov_b32_e32 v24, v25
	v_mov_b32_e32 v106, v26
	v_mov_b32_e32 v107, v26
	v_mov_b32_e32 v26, v27
	v_mov_b32_e32 v102, v152
	v_mov_b32_e32 v103, v152
	v_mov_b32_e32 v152, v153
	s_xor_b64 exec, exec, s[0:1]
	s_cbranch_execz .LBB0_23
; %bb.22:
	ds_read_b64 v[100:101], v108 offset:6336
	ds_read_b64 v[206:207], v108 offset:10944
	;; [unrolled: 1-line block ×6, first 2 shown]
	s_waitcnt lgkmcnt(4)
	v_mov_b32_e32 v104, v207
	s_waitcnt lgkmcnt(3)
	v_mov_b32_e32 v105, v176
	v_mov_b32_e32 v182, v100
	s_waitcnt lgkmcnt(1)
	v_mov_b32_e32 v183, v185
	v_mov_b32_e32 v176, v177
	;; [unrolled: 1-line block ×4, first 2 shown]
.LBB0_23:
	s_or_b64 exec, exec, s[0:1]
	s_waitcnt lgkmcnt(3)
	v_pk_mul_f32 v[210:211], v[8:9], v[88:89]
	s_waitcnt lgkmcnt(2)
	v_pk_mul_f32 v[212:213], v[10:11], v[84:85]
	v_pk_mul_f32 v[8:9], v[20:21], v[182:183] op_sel:[0,1]
	v_pk_mul_f32 v[10:11], v[22:23], v[184:185] op_sel:[0,1]
	v_pk_mul_f32 v[206:207], v[12:13], v[96:97]
	s_waitcnt lgkmcnt(0)
	v_pk_mul_f32 v[12:13], v[16:17], v[180:181] op_sel:[0,1]
	v_pk_fma_f32 v[214:215], v[20:21], v[184:185], v[8:9] op_sel:[0,0,1] op_sel_hi:[1,0,0]
	v_pk_fma_f32 v[20:21], v[20:21], v[184:185], v[8:9] op_sel:[0,0,1] op_sel_hi:[1,0,0] neg_lo:[1,0,0] neg_hi:[1,0,0]
	v_pk_fma_f32 v[184:185], v[22:23], v[182:183], v[10:11] op_sel:[0,0,1] op_sel_hi:[1,1,0]
	v_pk_fma_f32 v[8:9], v[22:23], v[182:183], v[10:11] op_sel:[0,0,1] op_sel_hi:[1,0,0] neg_lo:[1,0,0] neg_hi:[1,0,0]
	v_pk_mul_f32 v[208:209], v[14:15], v[92:93]
	v_pk_mul_f32 v[14:15], v[18:19], v[104:105] op_sel_hi:[1,0]
	v_mov_b32_e32 v185, v9
	v_pk_fma_f32 v[10:11], v[16:17], v[180:181], v[12:13] op_sel:[0,0,1] op_sel_hi:[1,1,0]
	v_pk_fma_f32 v[8:9], v[16:17], v[180:181], v[12:13] op_sel:[0,0,1] op_sel_hi:[1,0,0] neg_lo:[1,0,0] neg_hi:[1,0,0]
	v_pk_mul_f32 v[100:101], v[150:151], v[176:177] op_sel_hi:[1,0]
	v_mov_b32_e32 v11, v9
	v_pk_fma_f32 v[12:13], v[18:19], v[176:177], v[14:15] op_sel:[0,1,1] op_sel_hi:[1,1,0]
	v_pk_fma_f32 v[8:9], v[18:19], v[176:177], v[14:15] op_sel:[0,1,1] op_sel_hi:[1,1,0] neg_lo:[1,0,0] neg_hi:[1,0,0]
	v_pk_fma_f32 v[14:15], v[150:151], v[104:105], v[100:101] op_sel:[0,1,1] op_sel_hi:[1,1,0]
	v_mov_b32_e32 v13, v9
	v_pk_fma_f32 v[8:9], v[150:151], v[104:105], v[100:101] op_sel:[0,1,1] op_sel_hi:[1,1,0] neg_lo:[1,0,0] neg_hi:[1,0,0]
	v_mov_b32_e32 v215, v21
	v_mov_b32_e32 v15, v9
	v_pk_add_f32 v[8:9], v[184:185], v[178:179]
	v_pk_add_f32 v[16:17], v[10:11], v[14:15]
	v_pk_add_f32 v[22:23], v[10:11], v[14:15] neg_lo:[0,1] neg_hi:[0,1]
	v_pk_add_f32 v[10:11], v[10:11], v[214:215]
	v_pk_add_f32 v[8:9], v[12:13], v[8:9]
	v_mov_b32_e32 v18, v214
	s_mov_b32 s14, 0x3f5db3d7
	v_pk_add_f32 v[10:11], v[14:15], v[10:11]
	v_pk_add_f32 v[14:15], v[12:13], v[184:185]
	v_pk_add_f32 v[12:13], v[184:185], v[12:13] neg_lo:[0,1] neg_hi:[0,1]
	v_fmac_f32_e32 v18, -0.5, v16
	v_mul_f32_e32 v16, 0x3f5db3d7, v23
	v_fmac_f32_e32 v21, -0.5, v17
	v_mul_f32_e32 v20, 0x3f5db3d7, v22
	v_pk_fma_f32 v[22:23], v[14:15], 0.5, v[178:179] op_sel_hi:[1,0,1] neg_lo:[1,0,0] neg_hi:[1,0,0]
	v_pk_mul_f32 v[12:13], v[12:13], s[14:15] op_sel_hi:[1,0]
	s_mov_b32 s16, 0.5
	v_pk_add_f32 v[14:15], v[12:13], v[22:23] op_sel:[1,0] op_sel_hi:[0,1]
	v_pk_add_f32 v[12:13], v[22:23], v[12:13] op_sel:[0,1] op_sel_hi:[1,0] neg_lo:[0,1] neg_hi:[0,1]
	v_pk_add_f32 v[22:23], v[18:19], v[16:17] op_sel_hi:[0,0]
	v_pk_add_f32 v[18:19], v[18:19], v[16:17] op_sel_hi:[0,0] neg_lo:[0,1] neg_hi:[0,1]
	v_mov_b32_e32 v16, v21
	v_pk_add_f32 v[100:101], v[16:17], v[20:21] op_sel_hi:[0,0] neg_lo:[0,1] neg_hi:[0,1]
	v_pk_add_f32 v[20:21], v[16:17], v[20:21] op_sel_hi:[0,0]
	v_mov_b32_e32 v21, v101
	s_mov_b32 s15, s16
	v_mov_b32_e32 v19, v23
	s_mov_b32 s17, s14
	v_pk_mul_f32 v[16:17], v[20:21], s[14:15]
	v_pk_mul_f32 v[148:149], v[148:149], v[80:81]
	v_pk_fma_f32 v[104:105], v[18:19], s[16:17], v[16:17] neg_lo:[0,0,1] neg_hi:[0,0,1]
	v_mul_f32_e32 v19, 0.5, v20
	v_mul_f32_e32 v16, 0xbf5db3d7, v101
	v_fmac_f32_e32 v19, 0x3f5db3d7, v18
	v_pk_add_f32 v[100:101], v[12:13], v[104:105]
	v_mov_b32_e32 v18, v104
	v_mov_b32_e32 v17, v105
	v_pk_fma_f32 v[104:105], v[198:199], v[92:93], v[208:209] op_sel:[0,0,1] op_sel_hi:[1,1,0]
	v_pk_fma_f32 v[92:93], v[198:199], v[92:93], v[208:209] op_sel:[0,0,1] op_sel_hi:[1,1,0] neg_lo:[0,0,1] neg_hi:[0,0,1]
	v_fmac_f32_e32 v16, -0.5, v23
	v_mov_b32_e32 v105, v93
	v_pk_fma_f32 v[92:93], v[196:197], v[88:89], v[210:211] op_sel:[0,0,1] op_sel_hi:[1,1,0]
	v_pk_fma_f32 v[88:89], v[196:197], v[88:89], v[210:211] op_sel:[0,0,1] op_sel_hi:[1,1,0] neg_lo:[0,0,1] neg_hi:[0,0,1]
	v_pk_fma_f32 v[22:23], v[200:201], v[96:97], v[206:207] op_sel:[0,0,1] op_sel_hi:[1,1,0]
	v_mov_b32_e32 v93, v89
	v_pk_fma_f32 v[88:89], v[194:195], v[84:85], v[212:213] op_sel:[0,0,1] op_sel_hi:[1,1,0]
	v_pk_fma_f32 v[84:85], v[194:195], v[84:85], v[212:213] op_sel:[0,0,1] op_sel_hi:[1,1,0] neg_lo:[0,0,1] neg_hi:[0,0,1]
	v_pk_fma_f32 v[96:97], v[200:201], v[96:97], v[206:207] op_sel:[0,0,1] op_sel_hi:[1,1,0] neg_lo:[0,0,1] neg_hi:[0,0,1]
	v_mov_b32_e32 v89, v85
	v_pk_fma_f32 v[84:85], v[192:193], v[80:81], v[148:149] op_sel:[0,0,1] op_sel_hi:[1,1,0]
	v_pk_fma_f32 v[80:81], v[192:193], v[80:81], v[148:149] op_sel:[0,0,1] op_sel_hi:[1,1,0] neg_lo:[0,0,1] neg_hi:[0,0,1]
	v_mov_b32_e32 v23, v97
	v_mov_b32_e32 v85, v81
	v_pk_add_f32 v[148:149], v[92:93], v[84:85]
	v_mov_b32_e32 v96, v22
	v_pk_add_f32 v[80:81], v[76:77], v[104:105]
	v_fmac_f32_e32 v96, -0.5, v148
	v_pk_add_f32 v[150:151], v[92:93], v[84:85] neg_lo:[0,1] neg_hi:[0,1]
	v_pk_add_f32 v[22:23], v[22:23], v[92:93]
	v_fmac_f32_e32 v97, -0.5, v149
	v_pk_add_f32 v[80:81], v[80:81], v[88:89]
	v_fmamk_f32 v148, v151, 0xbf5db3d7, v96
	v_fmac_f32_e32 v96, 0x3f5db3d7, v151
	v_pk_add_f32 v[22:23], v[22:23], v[84:85]
	v_fmamk_f32 v84, v150, 0x3f5db3d7, v97
	v_fmac_f32_e32 v97, 0xbf5db3d7, v150
	v_pk_add_f32 v[150:151], v[104:105], v[88:89]
	v_pk_add_f32 v[88:89], v[104:105], v[88:89] neg_lo:[0,1] neg_hi:[0,1]
	v_pk_fma_f32 v[76:77], v[150:151], 0.5, v[76:77] op_sel_hi:[1,0,1] neg_lo:[1,0,0] neg_hi:[1,0,0]
	v_pk_mul_f32 v[88:89], v[88:89], s[14:15] op_sel_hi:[1,0]
	v_pk_mul_f32 v[84:85], v[84:85], s[14:15] op_sel_hi:[0,1]
	v_pk_add_f32 v[104:105], v[76:77], v[88:89] op_sel:[0,1] op_sel_hi:[1,0] neg_lo:[0,1] neg_hi:[0,1]
	v_pk_add_f32 v[76:77], v[76:77], v[88:89] op_sel:[0,1] op_sel_hi:[1,0]
	v_pk_fma_f32 v[150:151], v[148:149], s[16:17], v[84:85] neg_lo:[0,0,1] neg_hi:[0,0,1]
	v_pk_fma_f32 v[84:85], v[148:149], s[16:17], v[84:85] op_sel_hi:[0,1,1]
	v_mov_b32_e32 v88, v104
	v_mov_b32_e32 v89, v77
	;; [unrolled: 1-line block ×3, first 2 shown]
	v_pk_add_f32 v[92:93], v[80:81], v[22:23]
	v_pk_add_f32 v[84:85], v[88:89], v[150:151]
	s_barrier
	ds_write2_b64 v161, v[92:93], v[84:85] offset1:3
	v_mov_b32_e32 v84, v97
	s_mov_b32 s0, -0.5
	s_mov_b32 s1, s14
	v_pk_mul_f32 v[84:85], v[84:85], s[14:15] op_sel_hi:[0,1]
	v_pk_fma_f32 v[84:85], v[96:97], s[0:1], v[84:85] op_sel_hi:[0,1,1] neg_lo:[0,0,1] neg_hi:[0,0,1]
	v_mov_b32_e32 v77, v105
	v_pk_add_f32 v[92:93], v[76:77], v[84:85]
	v_pk_add_f32 v[22:23], v[80:81], v[22:23] neg_lo:[0,1] neg_hi:[0,1]
	v_pk_mul_f32 v[30:31], v[30:31], v[94:95]
	ds_write2_b64 v161, v[92:93], v[22:23] offset0:6 offset1:9
	v_pk_add_f32 v[22:23], v[88:89], v[150:151] neg_lo:[0,1] neg_hi:[0,1]
	v_pk_add_f32 v[76:77], v[76:77], v[84:85] neg_lo:[0,1] neg_hi:[0,1]
	v_pk_mul_f32 v[24:25], v[24:25], v[90:91]
	ds_write2_b64 v161, v[22:23], v[76:77] offset0:12 offset1:15
	v_pk_fma_f32 v[76:77], v[188:189], v[94:95], v[30:31] op_sel:[0,0,1] op_sel_hi:[1,1,0]
	v_pk_fma_f32 v[30:31], v[188:189], v[94:95], v[30:31] op_sel:[0,0,1] op_sel_hi:[1,1,0] neg_lo:[0,0,1] neg_hi:[0,0,1]
	v_pk_mul_f32 v[26:27], v[26:27], v[86:87]
	v_mov_b32_e32 v77, v31
	v_pk_fma_f32 v[30:31], v[186:187], v[90:91], v[24:25] op_sel:[0,0,1] op_sel_hi:[1,1,0]
	v_pk_fma_f32 v[24:25], v[186:187], v[90:91], v[24:25] op_sel:[0,0,1] op_sel_hi:[1,1,0] neg_lo:[0,0,1] neg_hi:[0,0,1]
	v_pk_mul_f32 v[152:153], v[152:153], v[82:83]
	v_mov_b32_e32 v31, v25
	;; [unrolled: 4-line block ×3, first 2 shown]
	v_pk_fma_f32 v[26:27], v[102:103], v[82:83], v[152:153] op_sel:[0,0,1] op_sel_hi:[1,1,0]
	v_pk_fma_f32 v[80:81], v[102:103], v[82:83], v[152:153] op_sel:[0,0,1] op_sel_hi:[1,1,0] neg_lo:[0,0,1] neg_hi:[0,0,1]
	v_pk_fma_f32 v[22:23], v[190:191], v[98:99], v[28:29] op_sel:[0,0,1] op_sel_hi:[1,1,0]
	v_pk_fma_f32 v[28:29], v[190:191], v[98:99], v[28:29] op_sel:[0,0,1] op_sel_hi:[1,1,0] neg_lo:[0,0,1] neg_hi:[0,0,1]
	v_mov_b32_e32 v27, v81
	v_mov_b32_e32 v23, v29
	v_pk_add_f32 v[82:83], v[30:31], v[26:27]
	v_mov_b32_e32 v28, v22
	v_pk_add_f32 v[80:81], v[78:79], v[76:77]
	v_fmac_f32_e32 v28, -0.5, v82
	v_pk_add_f32 v[84:85], v[30:31], v[26:27] neg_lo:[0,1] neg_hi:[0,1]
	v_pk_add_f32 v[22:23], v[22:23], v[30:31]
	v_fmac_f32_e32 v29, -0.5, v83
	v_pk_add_f32 v[80:81], v[80:81], v[24:25]
	v_fmamk_f32 v82, v85, 0xbf5db3d7, v28
	v_fmac_f32_e32 v28, 0x3f5db3d7, v85
	v_pk_add_f32 v[22:23], v[22:23], v[26:27]
	v_fmamk_f32 v26, v84, 0x3f5db3d7, v29
	v_fmac_f32_e32 v29, 0xbf5db3d7, v84
	v_pk_add_f32 v[84:85], v[76:77], v[24:25]
	v_pk_add_f32 v[24:25], v[76:77], v[24:25] neg_lo:[0,1] neg_hi:[0,1]
	v_pk_fma_f32 v[78:79], v[84:85], 0.5, v[78:79] op_sel_hi:[1,0,1] neg_lo:[1,0,0] neg_hi:[1,0,0]
	v_pk_mul_f32 v[24:25], v[24:25], s[14:15] op_sel_hi:[1,0]
	v_pk_mul_f32 v[26:27], v[26:27], s[14:15] op_sel_hi:[0,1]
	v_pk_add_f32 v[76:77], v[78:79], v[24:25] op_sel:[0,1] op_sel_hi:[1,0] neg_lo:[0,1] neg_hi:[0,1]
	v_pk_add_f32 v[24:25], v[78:79], v[24:25] op_sel:[0,1] op_sel_hi:[1,0]
	v_pk_fma_f32 v[84:85], v[82:83], s[16:17], v[26:27] neg_lo:[0,0,1] neg_hi:[0,0,1]
	v_pk_fma_f32 v[26:27], v[82:83], s[16:17], v[26:27] op_sel_hi:[0,1,1]
	v_mov_b32_e32 v78, v76
	v_mov_b32_e32 v79, v25
	;; [unrolled: 1-line block ×3, first 2 shown]
	v_pk_add_f32 v[30:31], v[80:81], v[22:23]
	v_pk_add_f32 v[26:27], v[78:79], v[84:85]
	ds_write2_b64 v202, v[30:31], v[26:27] offset1:3
	v_mov_b32_e32 v26, v29
	v_pk_mul_f32 v[26:27], v[26:27], s[14:15] op_sel_hi:[0,1]
	v_pk_fma_f32 v[26:27], v[28:29], s[0:1], v[26:27] op_sel_hi:[0,1,1] neg_lo:[0,0,1] neg_hi:[0,0,1]
	v_mov_b32_e32 v25, v77
	v_pk_add_f32 v[28:29], v[24:25], v[26:27]
	v_pk_add_f32 v[22:23], v[80:81], v[22:23] neg_lo:[0,1] neg_hi:[0,1]
	v_mov_b32_e32 v20, v12
	v_mov_b32_e32 v21, v15
	;; [unrolled: 1-line block ×3, first 2 shown]
	ds_write2_b64 v202, v[28:29], v[22:23] offset0:6 offset1:9
	v_pk_add_f32 v[22:23], v[78:79], v[84:85] neg_lo:[0,1] neg_hi:[0,1]
	v_pk_add_f32 v[24:25], v[24:25], v[26:27] neg_lo:[0,1] neg_hi:[0,1]
	ds_write2_b64 v202, v[22:23], v[24:25] offset0:12 offset1:15
	s_and_saveexec_b64 s[0:1], s[4:5]
	s_xor_b64 s[0:1], exec, s[0:1]
; %bb.24:
                                        ; implicit-def: $vgpr127
                                        ; implicit-def: $vgpr137
; %bb.25:
	s_or_saveexec_b64 s[0:1], s[0:1]
	v_pk_add_f32 v[76:77], v[8:9], v[10:11]
	v_add_f32_e32 v82, v14, v16
	v_add_f32_e32 v87, v15, v19
	v_pk_add_f32 v[78:79], v[8:9], v[10:11] neg_lo:[0,1] neg_hi:[0,1]
	v_pk_add_f32 v[84:85], v[20:21], v[18:19] neg_lo:[0,1] neg_hi:[0,1]
	;; [unrolled: 1-line block ×3, first 2 shown]
	s_xor_b64 exec, exec, s[0:1]
	s_cbranch_execz .LBB0_27
; %bb.26:
	v_mad_legacy_u16 v8, v127, 18, v137
	v_lshlrev_b32_e32 v8, 3, v8
	v_mov_b32_e32 v86, v100
	v_mov_b32_e32 v83, v101
	ds_write2_b64 v8, v[76:77], v[86:87] offset1:3
	ds_write2_b64 v8, v[82:83], v[78:79] offset0:6 offset1:9
	ds_write2_b64 v8, v[84:85], v[80:81] offset0:12 offset1:15
.LBB0_27:
	s_or_b64 exec, exec, s[0:1]
	v_add_u32_e32 v12, 0x800, v108
	s_waitcnt lgkmcnt(0)
	s_barrier
	ds_read2_b64 v[28:31], v12 offset0:32 offset1:140
	v_add_u32_e32 v12, 0x1000, v108
	ds_read2_b64 v[24:27], v12 offset0:64 offset1:172
	v_add_u32_e32 v12, 0x1800, v108
	ds_read2_b64 v[20:23], v12 offset0:96 offset1:204
	v_add_u32_e32 v12, 0x2000, v108
	ds_read2_b64 v[16:19], v12 offset0:128 offset1:236
	v_add_u32_e32 v12, 0x2c00, v108
	ds_read2_b64 v[8:11], v108 offset1:108
	ds_read2_b64 v[12:15], v12 offset0:32 offset1:140
	s_and_saveexec_b64 s[0:1], s[4:5]
	s_xor_b64 s[0:1], exec, s[0:1]
	s_or_saveexec_b64 s[0:1], s[0:1]
	v_mov_b32_e32 v180, v36
	v_mov_b32_e32 v181, v36
	;; [unrolled: 1-line block ×30, first 2 shown]
	s_xor_b64 exec, exec, s[0:1]
	s_cbranch_execz .LBB0_29
; %bb.28:
	ds_read_b64 v[76:77], v108 offset:1728
	ds_read_b64 v[86:87], v108 offset:4032
	;; [unrolled: 1-line block ×6, first 2 shown]
	s_waitcnt lgkmcnt(4)
	v_mov_b32_e32 v100, v86
	s_waitcnt lgkmcnt(3)
	v_mov_b32_e32 v101, v83
.LBB0_29:
	s_or_b64 exec, exec, s[0:1]
	s_waitcnt lgkmcnt(5)
	v_pk_mul_f32 v[36:37], v[36:37], v[28:29]
	s_waitcnt lgkmcnt(4)
	v_pk_mul_f32 v[38:39], v[38:39], v[24:25]
	;; [unrolled: 2-line block ×3, first 2 shown]
	v_pk_fma_f32 v[182:183], v[180:181], v[28:29], v[36:37] op_sel:[0,0,1] op_sel_hi:[1,1,0]
	v_pk_fma_f32 v[28:29], v[180:181], v[28:29], v[36:37] op_sel:[0,0,1] op_sel_hi:[1,1,0] neg_lo:[0,0,1] neg_hi:[0,0,1]
	v_pk_fma_f32 v[36:37], v[178:179], v[24:25], v[38:39] op_sel:[0,0,1] op_sel_hi:[1,1,0]
	v_pk_fma_f32 v[24:25], v[178:179], v[24:25], v[38:39] op_sel:[0,0,1] op_sel_hi:[1,1,0] neg_lo:[0,0,1] neg_hi:[0,0,1]
	s_waitcnt lgkmcnt(2)
	v_pk_mul_f32 v[34:35], v[34:35], v[16:17]
	v_mov_b32_e32 v37, v25
	v_pk_fma_f32 v[24:25], v[176:177], v[20:21], v[32:33] op_sel:[0,0,1] op_sel_hi:[1,1,0]
	v_pk_fma_f32 v[20:21], v[176:177], v[20:21], v[32:33] op_sel:[0,0,1] op_sel_hi:[1,1,0] neg_lo:[0,0,1] neg_hi:[0,0,1]
	s_waitcnt lgkmcnt(0)
	v_pk_mul_f32 v[156:157], v[156:157], v[12:13]
	v_mov_b32_e32 v25, v21
	v_pk_fma_f32 v[20:21], v[152:153], v[16:17], v[34:35] op_sel:[0,0,1] op_sel_hi:[1,1,0]
	v_pk_fma_f32 v[16:17], v[152:153], v[16:17], v[34:35] op_sel:[0,0,1] op_sel_hi:[1,1,0] neg_lo:[0,0,1] neg_hi:[0,0,1]
	v_mov_b32_e32 v183, v29
	v_mov_b32_e32 v21, v17
	v_pk_fma_f32 v[16:17], v[150:151], v[12:13], v[156:157] op_sel:[0,0,1] op_sel_hi:[1,1,0]
	v_pk_fma_f32 v[12:13], v[150:151], v[12:13], v[156:157] op_sel:[0,0,1] op_sel_hi:[1,1,0] neg_lo:[0,0,1] neg_hi:[0,0,1]
	s_mov_b32 s0, -0.5
	v_mov_b32_e32 v17, v13
	v_pk_add_f32 v[32:33], v[24:25], v[16:17]
	v_pk_add_f32 v[12:13], v[8:9], v[36:37]
	s_mov_b32 s1, 0x3f5db3d7
	v_mov_b32_e32 v28, v182
	v_pk_add_f32 v[34:35], v[24:25], v[16:17] neg_lo:[0,1] neg_hi:[0,1]
	v_pk_add_f32 v[24:25], v[182:183], v[24:25]
	v_fmac_f32_e32 v29, -0.5, v33
	v_pk_add_f32 v[12:13], v[12:13], v[20:21]
	v_fmac_f32_e32 v28, -0.5, v32
	v_pk_add_f32 v[16:17], v[24:25], v[16:17]
	v_fmamk_f32 v24, v34, 0x3f5db3d7, v29
	v_pk_add_f32 v[38:39], v[36:37], v[20:21]
	v_pk_add_f32 v[20:21], v[36:37], v[20:21] neg_lo:[0,1] neg_hi:[0,1]
	s_mov_b32 s14, s1
	s_mov_b32 s18, s1
	;; [unrolled: 1-line block ×3, first 2 shown]
	v_fmamk_f32 v32, v35, 0xbf5db3d7, v28
	v_pk_fma_f32 v[8:9], v[38:39], 0.5, v[8:9] op_sel_hi:[1,0,1] neg_lo:[1,0,0] neg_hi:[1,0,0]
	v_pk_mul_f32 v[20:21], v[20:21], s[14:15] op_sel_hi:[1,0]
	s_mov_b32 s17, s1
	v_pk_mul_f32 v[24:25], v[24:25], s[18:19] op_sel_hi:[0,1]
	v_pk_add_f32 v[36:37], v[8:9], v[20:21] op_sel:[0,1] op_sel_hi:[1,0] neg_lo:[0,1] neg_hi:[0,1]
	v_pk_add_f32 v[8:9], v[8:9], v[20:21] op_sel:[0,1] op_sel_hi:[1,0]
	v_pk_fma_f32 v[38:39], v[32:33], s[16:17], v[24:25] neg_lo:[0,0,1] neg_hi:[0,0,1]
	v_pk_fma_f32 v[24:25], v[32:33], s[16:17], v[24:25] op_sel_hi:[0,1,1]
	v_mov_b32_e32 v20, v36
	v_mov_b32_e32 v21, v9
	;; [unrolled: 1-line block ×3, first 2 shown]
	v_fmac_f32_e32 v28, 0x3f5db3d7, v35
	v_fmac_f32_e32 v29, 0xbf5db3d7, v34
	v_pk_add_f32 v[34:35], v[12:13], v[16:17]
	v_pk_add_f32 v[24:25], v[20:21], v[38:39]
	s_barrier
	ds_write2_b64 v203, v[34:35], v[24:25] offset1:18
	v_mov_b32_e32 v24, v29
	v_pk_mul_f32 v[24:25], v[24:25], s[18:19] op_sel_hi:[0,1]
	v_pk_fma_f32 v[24:25], v[28:29], s[0:1], v[24:25] op_sel_hi:[0,1,1] neg_lo:[0,0,1] neg_hi:[0,0,1]
	v_mov_b32_e32 v9, v37
	v_pk_mul_f32 v[62:63], v[62:63], v[26:27]
	v_pk_add_f32 v[28:29], v[8:9], v[24:25]
	v_pk_add_f32 v[12:13], v[12:13], v[16:17] neg_lo:[0,1] neg_hi:[0,1]
	v_pk_mul_f32 v[52:53], v[52:53], v[22:23]
	ds_write2_b64 v203, v[28:29], v[12:13] offset0:36 offset1:54
	v_pk_add_f32 v[12:13], v[20:21], v[38:39] neg_lo:[0,1] neg_hi:[0,1]
	v_pk_fma_f32 v[16:17], v[106:107], v[26:27], v[62:63] op_sel:[0,0,1] op_sel_hi:[1,1,0]
	v_pk_fma_f32 v[20:21], v[106:107], v[26:27], v[62:63] op_sel:[0,0,1] op_sel_hi:[1,1,0] neg_lo:[0,0,1] neg_hi:[0,0,1]
	v_pk_mul_f32 v[54:55], v[54:55], v[18:19]
	v_mov_b32_e32 v17, v21
	v_pk_fma_f32 v[20:21], v[104:105], v[22:23], v[52:53] op_sel:[0,0,1] op_sel_hi:[1,1,0]
	v_pk_fma_f32 v[22:23], v[104:105], v[22:23], v[52:53] op_sel:[0,0,1] op_sel_hi:[1,1,0] neg_lo:[0,0,1] neg_hi:[0,0,1]
	v_pk_mul_f32 v[158:159], v[158:159], v[14:15]
	v_mov_b32_e32 v21, v23
	v_pk_fma_f32 v[22:23], v[102:103], v[18:19], v[54:55] op_sel:[0,0,1] op_sel_hi:[1,1,0]
	v_pk_fma_f32 v[18:19], v[102:103], v[18:19], v[54:55] op_sel:[0,0,1] op_sel_hi:[1,1,0] neg_lo:[0,0,1] neg_hi:[0,0,1]
	v_pk_mul_f32 v[60:61], v[60:61], v[30:31]
	v_pk_add_f32 v[8:9], v[8:9], v[24:25] neg_lo:[0,1] neg_hi:[0,1]
	v_mov_b32_e32 v23, v19
	v_pk_fma_f32 v[18:19], v[98:99], v[14:15], v[158:159] op_sel:[0,0,1] op_sel_hi:[1,1,0]
	v_pk_fma_f32 v[14:15], v[98:99], v[14:15], v[158:159] op_sel:[0,0,1] op_sel_hi:[1,1,0] neg_lo:[0,0,1] neg_hi:[0,0,1]
	ds_write2_b64 v203, v[12:13], v[8:9] offset0:72 offset1:90
	v_pk_fma_f32 v[8:9], v[148:149], v[30:31], v[60:61] op_sel:[0,0,1] op_sel_hi:[1,1,0]
	v_pk_fma_f32 v[12:13], v[148:149], v[30:31], v[60:61] op_sel:[0,0,1] op_sel_hi:[1,1,0] neg_lo:[0,0,1] neg_hi:[0,0,1]
	v_mov_b32_e32 v19, v15
	v_mov_b32_e32 v9, v13
	v_pk_add_f32 v[24:25], v[20:21], v[18:19]
	v_mov_b32_e32 v12, v8
	v_fmac_f32_e32 v12, -0.5, v24
	v_pk_add_f32 v[26:27], v[20:21], v[18:19] neg_lo:[0,1] neg_hi:[0,1]
	v_pk_add_f32 v[8:9], v[8:9], v[20:21]
	v_fmac_f32_e32 v13, -0.5, v25
	v_pk_add_f32 v[14:15], v[10:11], v[16:17]
	v_fmamk_f32 v24, v27, 0xbf5db3d7, v12
	v_fmac_f32_e32 v12, 0x3f5db3d7, v27
	v_pk_add_f32 v[8:9], v[8:9], v[18:19]
	v_fmamk_f32 v18, v26, 0x3f5db3d7, v13
	v_fmac_f32_e32 v13, 0xbf5db3d7, v26
	v_pk_add_f32 v[26:27], v[16:17], v[22:23]
	v_pk_add_f32 v[16:17], v[16:17], v[22:23] neg_lo:[0,1] neg_hi:[0,1]
	v_pk_fma_f32 v[10:11], v[26:27], 0.5, v[10:11] op_sel_hi:[1,0,1] neg_lo:[1,0,0] neg_hi:[1,0,0]
	v_pk_mul_f32 v[16:17], v[16:17], s[14:15] op_sel_hi:[1,0]
	v_pk_mul_f32 v[18:19], v[18:19], s[18:19] op_sel_hi:[0,1]
	v_pk_add_f32 v[14:15], v[14:15], v[22:23]
	v_pk_add_f32 v[22:23], v[10:11], v[16:17] op_sel:[0,1] op_sel_hi:[1,0] neg_lo:[0,1] neg_hi:[0,1]
	v_pk_add_f32 v[10:11], v[10:11], v[16:17] op_sel:[0,1] op_sel_hi:[1,0]
	v_pk_fma_f32 v[26:27], v[24:25], s[16:17], v[18:19] neg_lo:[0,0,1] neg_hi:[0,0,1]
	v_pk_fma_f32 v[18:19], v[24:25], s[16:17], v[18:19] op_sel_hi:[0,1,1]
	v_mov_b32_e32 v16, v22
	v_mov_b32_e32 v17, v11
	;; [unrolled: 1-line block ×3, first 2 shown]
	v_pk_add_f32 v[20:21], v[14:15], v[8:9]
	v_pk_add_f32 v[18:19], v[16:17], v[26:27]
	ds_write2_b64 v204, v[20:21], v[18:19] offset1:18
	v_mov_b32_e32 v18, v13
	v_pk_mul_f32 v[18:19], v[18:19], s[18:19] op_sel_hi:[0,1]
	v_pk_fma_f32 v[12:13], v[12:13], s[0:1], v[18:19] op_sel_hi:[0,1,1] neg_lo:[0,0,1] neg_hi:[0,0,1]
	v_mov_b32_e32 v11, v23
	v_pk_add_f32 v[18:19], v[10:11], v[12:13]
	v_pk_add_f32 v[8:9], v[14:15], v[8:9] neg_lo:[0,1] neg_hi:[0,1]
	v_mov_b32_e32 v92, v74
	v_mov_b32_e32 v93, v74
	;; [unrolled: 1-line block ×15, first 2 shown]
	s_mov_b32 s4, 0xbf5db3d7
	ds_write2_b64 v204, v[18:19], v[8:9] offset0:36 offset1:54
	v_pk_add_f32 v[8:9], v[16:17], v[26:27] neg_lo:[0,1] neg_hi:[0,1]
	v_pk_add_f32 v[10:11], v[10:11], v[12:13] neg_lo:[0,1] neg_hi:[0,1]
	ds_write2_b64 v204, v[8:9], v[10:11] offset0:72 offset1:90
	s_and_saveexec_b64 s[14:15], s[2:3]
	s_cbranch_execz .LBB0_31
; %bb.30:
	s_movk_i32 s2, 0x6c
	v_pk_mul_f32 v[8:9], v[2:3], v[100:101] op_sel:[0,1]
	v_mad_legacy_u16 v18, v163, s2, v165
	v_pk_mul_f32 v[10:11], v[6:7], v[84:85] op_sel:[0,1]
	v_lshlrev_b32_e32 v22, 3, v18
	v_pk_fma_f32 v[18:19], v[2:3], v[82:83], v[8:9] op_sel:[0,0,1] op_sel_hi:[1,1,0]
	v_pk_fma_f32 v[2:3], v[2:3], v[82:83], v[8:9] op_sel:[0,0,1] op_sel_hi:[1,0,0] neg_lo:[1,0,0] neg_hi:[1,0,0]
	v_pk_mul_f32 v[14:15], v[4:5], v[78:79] op_sel:[0,1]
	v_mov_b32_e32 v19, v3
	v_pk_fma_f32 v[2:3], v[6:7], v[84:85], v[10:11] op_sel:[0,0,1] op_sel_hi:[1,1,0]
	v_pk_fma_f32 v[6:7], v[6:7], v[84:85], v[10:11] op_sel:[0,0,1] op_sel_hi:[1,0,0] neg_lo:[1,0,0] neg_hi:[1,0,0]
	v_pk_mul_f32 v[16:17], v[146:147], v[80:81] op_sel:[0,1]
	v_mov_b32_e32 v3, v7
	v_pk_fma_f32 v[20:21], v[4:5], v[78:79], v[14:15] op_sel:[0,0,1] op_sel_hi:[1,1,0]
	v_pk_fma_f32 v[4:5], v[4:5], v[78:79], v[14:15] op_sel:[0,0,1] op_sel_hi:[1,0,0] neg_lo:[1,0,0] neg_hi:[1,0,0]
	v_mov_b32_e32 v12, v87
	v_pk_add_f32 v[6:7], v[2:3], v[18:19]
	v_pk_add_f32 v[8:9], v[18:19], v[2:3] neg_lo:[0,1] neg_hi:[0,1]
	s_mov_b32 s2, s1
	v_mov_b32_e32 v21, v5
	v_pk_fma_f32 v[4:5], v[146:147], v[80:81], v[16:17] op_sel:[0,0,1] op_sel_hi:[1,1,0]
	v_pk_fma_f32 v[14:15], v[146:147], v[80:81], v[16:17] op_sel:[0,0,1] op_sel_hi:[1,0,0] neg_lo:[1,0,0] neg_hi:[1,0,0]
	v_pk_mul_f32 v[12:13], v[0:1], v[12:13] op_sel_hi:[1,0]
	v_pk_fma_f32 v[6:7], -0.5, v[6:7], v[76:77] op_sel_hi:[0,1,1]
	v_pk_mul_f32 v[8:9], v[8:9], s[2:3] op_sel_hi:[1,0]
	v_mov_b32_e32 v5, v15
	v_pk_add_f32 v[10:11], v[8:9], v[6:7] op_sel:[1,0] op_sel_hi:[0,1]
	v_pk_add_f32 v[6:7], v[6:7], v[8:9] op_sel:[0,1] op_sel_hi:[1,0] neg_lo:[0,1] neg_hi:[0,1]
	v_pk_add_f32 v[14:15], v[20:21], v[4:5]
	v_pk_fma_f32 v[16:17], v[0:1], v[100:101], v[12:13] op_sel:[0,0,1] op_sel_hi:[1,0,0]
	v_pk_fma_f32 v[0:1], v[0:1], v[100:101], v[12:13] op_sel:[0,0,1] op_sel_hi:[1,0,0] neg_lo:[1,0,0] neg_hi:[1,0,0]
	v_mov_b32_e32 v9, v7
	v_mov_b32_e32 v17, v1
	;; [unrolled: 1-line block ×3, first 2 shown]
	v_pk_add_f32 v[12:13], v[20:21], v[4:5] neg_lo:[0,1] neg_hi:[0,1]
	v_fmac_f32_e32 v1, -0.5, v15
	v_mov_b32_e32 v8, v10
	v_fmac_f32_e32 v7, -0.5, v14
	v_fmamk_f32 v10, v12, 0xbf5db3d7, v1
	v_fmac_f32_e32 v1, 0x3f5db3d7, v12
	v_fmamk_f32 v0, v13, 0x3f5db3d7, v7
	v_fmac_f32_e32 v7, 0xbf5db3d7, v13
	v_mul_f32_e32 v23, 0.5, v1
	v_fmac_f32_e32 v23, 0x3f5db3d7, v7
	v_mul_f32_e32 v24, 0xbf5db3d7, v1
	v_pk_add_f32 v[12:13], v[20:21], v[16:17]
	s_mov_b32 s5, s0
	v_pk_add_f32 v[16:17], v[18:19], v[76:77]
	v_fmac_f32_e32 v24, 0.5, v7
	v_pk_add_f32 v[4:5], v[4:5], v[12:13]
	v_sub_f32_e32 v1, v11, v23
	v_pk_mul_f32 v[12:13], v[10:11], s[4:5] op_sel_hi:[0,1]
	v_pk_add_f32 v[2:3], v[2:3], v[16:17]
	v_pk_fma_f32 v[12:13], v[0:1], s[0:1], v[12:13] op_sel_hi:[0,1,1]
	v_sub_f32_e32 v0, v6, v24
	v_pk_add_f32 v[16:17], v[2:3], v[4:5] neg_lo:[0,1] neg_hi:[0,1]
	v_add_f32_e32 v7, v11, v23
	v_add_f32_e32 v6, v6, v24
	v_pk_add_f32 v[2:3], v[2:3], v[4:5]
	ds_write2_b64 v22, v[2:3], v[6:7] offset1:18
	v_pk_add_f32 v[2:3], v[8:9], v[12:13]
	v_pk_add_f32 v[14:15], v[8:9], v[12:13] neg_lo:[0,1] neg_hi:[0,1]
	ds_write2_b64 v22, v[2:3], v[16:17] offset0:36 offset1:54
	ds_write2_b64 v22, v[0:1], v[14:15] offset0:72 offset1:90
.LBB0_31:
	s_or_b64 exec, exec, s[14:15]
	s_waitcnt lgkmcnt(0)
	s_barrier
	ds_read2_b64 v[6:9], v108 offset1:108
	v_add_u32_e32 v47, 0x400, v108
	ds_read2_b64 v[10:13], v47 offset0:88 offset1:196
	v_add_u32_e32 v49, 0xc00, v108
	ds_read2_b64 v[14:17], v49 offset0:48 offset1:156
	s_waitcnt lgkmcnt(2)
	v_pk_mul_f32 v[38:39], v[172:173], v[8:9] op_sel_hi:[0,1]
	v_pk_fma_f32 v[52:53], v[44:45], v[8:9], v[38:39] op_sel:[0,0,1] op_sel_hi:[1,1,0]
	v_pk_fma_f32 v[8:9], v[44:45], v[8:9], v[38:39] op_sel:[0,0,1] op_sel_hi:[0,1,0] neg_lo:[0,0,1] neg_hi:[0,0,1]
	v_mov_b32_e32 v53, v9
	s_waitcnt lgkmcnt(1)
	v_pk_mul_f32 v[8:9], v[170:171], v[10:11] op_sel_hi:[0,1]
	v_mad_u64_u32 v[2:3], s[0:1], s10, v136, 0
	v_pk_fma_f32 v[38:39], v[46:47], v[10:11], v[8:9] op_sel:[0,0,1] op_sel_hi:[1,1,0]
	v_pk_fma_f32 v[8:9], v[46:47], v[10:11], v[8:9] op_sel:[0,0,1] op_sel_hi:[0,1,0] neg_lo:[0,0,1] neg_hi:[0,0,1]
	v_mov_b32_e32 v4, v3
	v_add_u32_e32 v3, 0x1000, v108
	v_mov_b32_e32 v39, v9
	v_pk_mul_f32 v[8:9], v[72:73], v[12:13]
	ds_read2_b64 v[18:21], v3 offset0:136 offset1:244
	v_pk_fma_f32 v[10:11], v[96:97], v[12:13], v[8:9] op_sel:[0,0,1] op_sel_hi:[1,1,0]
	v_pk_fma_f32 v[8:9], v[96:97], v[12:13], v[8:9] op_sel:[0,0,1] op_sel_hi:[1,1,0] neg_lo:[0,0,1] neg_hi:[0,0,1]
	v_add_u32_e32 v51, 0x1800, v108
	v_mov_b32_e32 v11, v9
	s_waitcnt lgkmcnt(1)
	v_pk_mul_f32 v[8:9], v[74:75], v[14:15]
	ds_read2_b64 v[22:25], v51 offset0:96 offset1:204
	v_pk_fma_f32 v[12:13], v[92:93], v[14:15], v[8:9] op_sel:[0,0,1] op_sel_hi:[1,1,0]
	v_pk_fma_f32 v[8:9], v[92:93], v[14:15], v[8:9] op_sel:[0,0,1] op_sel_hi:[1,1,0] neg_lo:[0,0,1] neg_hi:[0,0,1]
	v_add_u32_e32 v54, 0x2000, v108
	v_mov_b32_e32 v13, v9
	v_pk_mul_f32 v[8:9], v[164:165], v[16:17] op_sel_hi:[0,1]
	v_pk_fma_f32 v[14:15], v[40:41], v[16:17], v[8:9] op_sel:[0,0,1] op_sel_hi:[1,1,0]
	v_pk_fma_f32 v[8:9], v[40:41], v[16:17], v[8:9] op_sel:[0,0,1] op_sel_hi:[0,1,0] neg_lo:[0,0,1] neg_hi:[0,0,1]
	v_mov_b32_e32 v15, v9
	s_waitcnt lgkmcnt(1)
	v_pk_mul_f32 v[8:9], v[174:175], v[18:19] op_sel_hi:[0,1]
	v_pk_fma_f32 v[16:17], v[42:43], v[18:19], v[8:9] op_sel:[0,0,1] op_sel_hi:[1,1,0]
	v_pk_fma_f32 v[8:9], v[42:43], v[18:19], v[8:9] op_sel:[0,0,1] op_sel_hi:[0,1,0] neg_lo:[0,0,1] neg_hi:[0,0,1]
	v_mov_b32_e32 v17, v9
	v_pk_mul_f32 v[8:9], v[68:69], v[20:21]
	ds_read2_b64 v[26:29], v54 offset0:56 offset1:164
	v_pk_fma_f32 v[18:19], v[94:95], v[20:21], v[8:9] op_sel:[0,0,1] op_sel_hi:[1,1,0]
	v_pk_fma_f32 v[8:9], v[94:95], v[20:21], v[8:9] op_sel:[0,0,1] op_sel_hi:[1,1,0] neg_lo:[0,0,1] neg_hi:[0,0,1]
	v_add_u32_e32 v55, 0x2800, v108
	v_mov_b32_e32 v19, v9
	s_waitcnt lgkmcnt(1)
	v_pk_mul_f32 v[8:9], v[70:71], v[22:23]
	ds_read2_b64 v[30:33], v55 offset0:16 offset1:124
	v_pk_fma_f32 v[20:21], v[90:91], v[22:23], v[8:9] op_sel:[0,0,1] op_sel_hi:[1,1,0]
	v_pk_fma_f32 v[8:9], v[90:91], v[22:23], v[8:9] op_sel:[0,0,1] op_sel_hi:[1,1,0] neg_lo:[0,0,1] neg_hi:[0,0,1]
	v_add_u32_e32 v5, 0x2c00, v108
	v_mov_b32_e32 v21, v9
	v_pk_mul_f32 v[8:9], v[166:167], v[24:25] op_sel_hi:[0,1]
	v_pk_fma_f32 v[22:23], v[64:65], v[24:25], v[8:9] op_sel:[0,0,1] op_sel_hi:[1,1,0]
	v_pk_fma_f32 v[8:9], v[64:65], v[24:25], v[8:9] op_sel:[0,0,1] op_sel_hi:[0,1,0] neg_lo:[0,0,1] neg_hi:[0,0,1]
	v_mov_b32_e32 v23, v9
	s_waitcnt lgkmcnt(1)
	v_pk_mul_f32 v[8:9], v[168:169], v[26:27] op_sel_hi:[0,1]
	v_pk_fma_f32 v[24:25], v[66:67], v[26:27], v[8:9] op_sel:[0,0,1] op_sel_hi:[1,1,0]
	v_pk_fma_f32 v[8:9], v[66:67], v[26:27], v[8:9] op_sel:[0,0,1] op_sel_hi:[0,1,0] neg_lo:[0,0,1] neg_hi:[0,0,1]
	v_mov_b32_e32 v25, v9
	v_pk_mul_f32 v[8:9], v[56:57], v[28:29] op_sel:[1,0]
	ds_read2_b64 v[34:37], v5 offset0:104 offset1:212
	v_pk_fma_f32 v[26:27], v[56:57], v[28:29], v[8:9] op_sel:[0,0,1] op_sel_hi:[1,1,0]
	v_pk_fma_f32 v[8:9], v[56:57], v[28:29], v[8:9] op_sel:[0,0,1] op_sel_hi:[0,1,0] neg_lo:[0,0,1] neg_hi:[0,0,1]
	v_mov_b32_e32 v27, v9
	s_waitcnt lgkmcnt(1)
	v_pk_mul_f32 v[8:9], v[58:59], v[30:31]
	v_pk_add_f32 v[24:25], v[38:39], v[24:25] neg_lo:[0,1] neg_hi:[0,1]
	v_pk_fma_f32 v[28:29], v[88:89], v[30:31], v[8:9] op_sel:[0,0,1] op_sel_hi:[1,1,0]
	v_pk_fma_f32 v[8:9], v[88:89], v[30:31], v[8:9] op_sel:[0,0,1] op_sel_hi:[1,1,0] neg_lo:[0,0,1] neg_hi:[0,0,1]
	v_pk_add_f32 v[22:23], v[52:53], v[22:23] neg_lo:[0,1] neg_hi:[0,1]
	v_mov_b32_e32 v29, v9
	v_pk_mul_f32 v[8:9], v[162:163], v[32:33] op_sel_hi:[0,1]
	v_pk_fma_f32 v[30:31], v[48:49], v[32:33], v[8:9] op_sel:[0,0,1] op_sel_hi:[1,1,0]
	v_pk_fma_f32 v[8:9], v[48:49], v[32:33], v[8:9] op_sel:[0,0,1] op_sel_hi:[0,1,0] neg_lo:[0,0,1] neg_hi:[0,0,1]
	v_mov_b32_e32 v31, v9
	s_waitcnt lgkmcnt(0)
	v_pk_mul_f32 v[8:9], v[160:161], v[34:35] op_sel_hi:[0,1]
	v_pk_fma_f32 v[32:33], v[50:51], v[34:35], v[8:9] op_sel:[0,0,1] op_sel_hi:[1,1,0]
	v_pk_fma_f32 v[8:9], v[50:51], v[34:35], v[8:9] op_sel:[0,0,1] op_sel_hi:[0,1,0] neg_lo:[0,0,1] neg_hi:[0,0,1]
	v_mov_b32_e32 v33, v9
	v_pk_mul_f32 v[8:9], v[154:155], v[36:37] op_sel:[1,0]
	v_pk_add_f32 v[32:33], v[16:17], v[32:33] neg_lo:[0,1] neg_hi:[0,1]
	v_pk_fma_f32 v[34:35], v[154:155], v[36:37], v[8:9] op_sel:[0,0,1] op_sel_hi:[1,1,0]
	v_pk_fma_f32 v[8:9], v[154:155], v[36:37], v[8:9] op_sel:[0,0,1] op_sel_hi:[0,1,0] neg_lo:[0,0,1] neg_hi:[0,0,1]
	v_mov_b32_e32 v35, v9
	v_pk_add_f32 v[8:9], v[6:7], v[20:21] neg_lo:[0,1] neg_hi:[0,1]
	v_pk_add_f32 v[20:21], v[12:13], v[28:29] neg_lo:[0,1] neg_hi:[0,1]
	v_pk_fma_f32 v[28:29], v[38:39], 2.0, v[24:25] op_sel_hi:[1,0,1] neg_lo:[0,0,1] neg_hi:[0,0,1]
	v_pk_fma_f32 v[12:13], v[12:13], 2.0, v[20:21] op_sel_hi:[1,0,1] neg_lo:[0,0,1] neg_hi:[0,0,1]
	v_pk_add_f32 v[38:39], v[8:9], v[20:21] op_sel:[0,1] op_sel_hi:[1,0]
	v_pk_add_f32 v[20:21], v[8:9], v[20:21] op_sel:[0,1] op_sel_hi:[1,0] neg_lo:[0,1] neg_hi:[0,1]
	v_pk_fma_f32 v[16:17], v[16:17], 2.0, v[32:33] op_sel_hi:[1,0,1] neg_lo:[0,0,1] neg_hi:[0,0,1]
	v_pk_add_f32 v[30:31], v[14:15], v[30:31] neg_lo:[0,1] neg_hi:[0,1]
	v_mov_b32_e32 v39, v21
	v_pk_add_f32 v[20:21], v[24:25], v[32:33] op_sel:[0,1] op_sel_hi:[1,0]
	v_pk_add_f32 v[32:33], v[24:25], v[32:33] op_sel:[0,1] op_sel_hi:[1,0] neg_lo:[0,1] neg_hi:[0,1]
	v_pk_fma_f32 v[14:15], v[14:15], 2.0, v[30:31] op_sel_hi:[1,0,1] neg_lo:[0,0,1] neg_hi:[0,0,1]
	v_pk_add_f32 v[26:27], v[10:11], v[26:27] neg_lo:[0,1] neg_hi:[0,1]
	v_pk_add_f32 v[34:35], v[18:19], v[34:35] neg_lo:[0,1] neg_hi:[0,1]
	v_mov_b32_e32 v21, v33
	v_pk_add_f32 v[32:33], v[22:23], v[30:31] op_sel:[0,1] op_sel_hi:[1,0]
	v_pk_add_f32 v[30:31], v[22:23], v[30:31] op_sel:[0,1] op_sel_hi:[1,0] neg_lo:[0,1] neg_hi:[0,1]
	v_pk_fma_f32 v[18:19], v[18:19], 2.0, v[34:35] op_sel_hi:[1,0,1] neg_lo:[0,0,1] neg_hi:[0,0,1]
	v_mov_b32_e32 v33, v31
	v_pk_add_f32 v[30:31], v[26:27], v[34:35] op_sel:[0,1] op_sel_hi:[1,0]
	v_pk_add_f32 v[34:35], v[26:27], v[34:35] op_sel:[0,1] op_sel_hi:[1,0] neg_lo:[0,1] neg_hi:[0,1]
	v_pk_fma_f32 v[6:7], v[6:7], 2.0, v[8:9] op_sel_hi:[1,0,1] neg_lo:[0,0,1] neg_hi:[0,0,1]
	v_pk_fma_f32 v[8:9], v[8:9], 2.0, v[38:39] op_sel_hi:[1,0,1] neg_lo:[0,0,1] neg_hi:[0,0,1]
	;; [unrolled: 1-line block ×3, first 2 shown]
	v_mov_b32_e32 v31, v35
	s_mov_b32 s0, 0x3f3504f3
	v_pk_fma_f32 v[36:37], v[52:53], 2.0, v[22:23] op_sel_hi:[1,0,1] neg_lo:[0,0,1] neg_hi:[0,0,1]
	v_pk_fma_f32 v[10:11], v[10:11], 2.0, v[26:27] op_sel_hi:[1,0,1] neg_lo:[0,0,1] neg_hi:[0,0,1]
	;; [unrolled: 1-line block ×4, first 2 shown]
	v_pk_mul_f32 v[34:35], v[24:25], s[0:1] op_sel_hi:[1,0]
	v_pk_fma_f32 v[24:25], v[24:25], s[0:1], v[8:9] op_sel_hi:[1,0,1] neg_lo:[1,0,0] neg_hi:[1,0,0]
	v_pk_add_f32 v[12:13], v[6:7], v[12:13] neg_lo:[0,1] neg_hi:[0,1]
	v_pk_add_f32 v[40:41], v[24:25], v[34:35] op_sel:[0,1] op_sel_hi:[1,0]
	v_pk_add_f32 v[24:25], v[24:25], v[34:35] op_sel:[0,1] op_sel_hi:[1,0] neg_lo:[0,1] neg_hi:[0,1]
	v_pk_mul_f32 v[34:35], v[26:27], s[0:1] op_sel_hi:[1,0]
	v_pk_fma_f32 v[26:27], v[26:27], s[0:1], v[22:23] op_sel_hi:[1,0,1] neg_lo:[1,0,0] neg_hi:[1,0,0]
	v_pk_add_f32 v[16:17], v[28:29], v[16:17] neg_lo:[0,1] neg_hi:[0,1]
	v_pk_add_f32 v[42:43], v[26:27], v[34:35] op_sel:[0,1] op_sel_hi:[1,0]
	v_pk_add_f32 v[26:27], v[26:27], v[34:35] op_sel:[0,1] op_sel_hi:[1,0] neg_lo:[0,1] neg_hi:[0,1]
	v_pk_add_f32 v[14:15], v[36:37], v[14:15] neg_lo:[0,1] neg_hi:[0,1]
	v_pk_add_f32 v[18:19], v[10:11], v[18:19] neg_lo:[0,1] neg_hi:[0,1]
	v_mov_b32_e32 v41, v25
	v_mov_b32_e32 v43, v27
	v_pk_fma_f32 v[6:7], v[6:7], 2.0, v[12:13] op_sel_hi:[1,0,1] neg_lo:[0,0,1] neg_hi:[0,0,1]
	v_pk_fma_f32 v[28:29], v[28:29], 2.0, v[16:17] op_sel_hi:[1,0,1] neg_lo:[0,0,1] neg_hi:[0,0,1]
	;; [unrolled: 1-line block ×6, first 2 shown]
	s_mov_b32 s2, 0x3f6c835e
	s_mov_b32 s4, 0x3ec3ef15
	v_pk_add_f32 v[28:29], v[6:7], v[28:29] neg_lo:[0,1] neg_hi:[0,1]
	v_pk_add_f32 v[10:11], v[36:37], v[10:11] neg_lo:[0,1] neg_hi:[0,1]
	v_pk_fma_f32 v[34:35], v[22:23], s[2:3], v[8:9] op_sel_hi:[1,0,1] neg_lo:[1,0,0] neg_hi:[1,0,0]
	v_pk_mul_f32 v[22:23], v[22:23], s[4:5] op_sel_hi:[1,0]
	v_pk_fma_f32 v[6:7], v[6:7], 2.0, v[28:29] op_sel_hi:[1,0,1] neg_lo:[0,0,1] neg_hi:[0,0,1]
	v_pk_fma_f32 v[36:37], v[36:37], 2.0, v[10:11] op_sel_hi:[1,0,1] neg_lo:[0,0,1] neg_hi:[0,0,1]
	v_pk_add_f32 v[44:45], v[34:35], v[22:23] op_sel:[0,1] op_sel_hi:[1,0]
	v_pk_add_f32 v[22:23], v[34:35], v[22:23] op_sel:[0,1] op_sel_hi:[1,0] neg_lo:[0,1] neg_hi:[0,1]
	v_pk_add_f32 v[36:37], v[6:7], v[36:37] neg_lo:[0,1] neg_hi:[0,1]
	v_mov_b32_e32 v45, v23
	v_pk_fma_f32 v[6:7], v[6:7], 2.0, v[36:37] op_sel_hi:[1,0,1] neg_lo:[0,0,1] neg_hi:[0,0,1]
	v_pk_fma_f32 v[8:9], v[8:9], 2.0, v[44:45] op_sel_hi:[1,0,1] neg_lo:[0,0,1] neg_hi:[0,0,1]
	ds_write2_b64 v108, v[6:7], v[8:9] offset1:108
	v_pk_add_f32 v[6:7], v[12:13], v[16:17] op_sel:[0,1] op_sel_hi:[1,0]
	v_pk_add_f32 v[8:9], v[12:13], v[16:17] op_sel:[0,1] op_sel_hi:[1,0] neg_lo:[0,1] neg_hi:[0,1]
	v_pk_add_f32 v[16:17], v[14:15], v[18:19] op_sel:[0,1] op_sel_hi:[1,0] neg_lo:[0,1] neg_hi:[0,1]
	v_mov_b32_e32 v7, v9
	v_pk_fma_f32 v[8:9], v[12:13], 2.0, v[6:7] op_sel_hi:[1,0,1] neg_lo:[0,0,1] neg_hi:[0,0,1]
	v_pk_add_f32 v[12:13], v[14:15], v[18:19] op_sel:[0,1] op_sel_hi:[1,0]
	v_fmamk_f32 v22, v42, 0x3ec3ef15, v40
	v_mov_b32_e32 v13, v17
	v_pk_fma_f32 v[14:15], v[14:15], 2.0, v[12:13] op_sel_hi:[1,0,1] neg_lo:[0,0,1] neg_hi:[0,0,1]
	v_fmamk_f32 v23, v27, 0x3ec3ef15, v25
	v_pk_mul_f32 v[16:17], v[14:15], s[0:1] op_sel_hi:[1,0]
	v_pk_fma_f32 v[14:15], v[14:15], s[0:1], v[8:9] op_sel_hi:[1,0,1] neg_lo:[1,0,0] neg_hi:[1,0,0]
	v_fmac_f32_e32 v22, 0x3f6c835e, v27
	v_pk_add_f32 v[18:19], v[14:15], v[16:17] op_sel:[0,1] op_sel_hi:[1,0]
	v_pk_add_f32 v[14:15], v[14:15], v[16:17] op_sel:[0,1] op_sel_hi:[1,0] neg_lo:[0,1] neg_hi:[0,1]
	v_pk_fma_f32 v[16:17], v[20:21], s[0:1], v[38:39] op_sel_hi:[1,0,1]
	v_mov_b32_e32 v19, v15
	v_pk_mul_f32 v[14:15], v[20:21], s[0:1] op_sel_hi:[1,0]
	v_pk_mul_f32 v[26:27], v[30:31], s[0:1] op_sel_hi:[1,0]
	v_pk_fma_f32 v[30:31], v[30:31], s[0:1], v[32:33] op_sel_hi:[1,0,1]
	v_pk_add_f32 v[20:21], v[16:17], v[14:15] op_sel:[0,1] op_sel_hi:[1,0]
	v_pk_add_f32 v[14:15], v[16:17], v[14:15] op_sel:[0,1] op_sel_hi:[1,0] neg_lo:[0,1] neg_hi:[0,1]
	v_pk_add_f32 v[34:35], v[30:31], v[26:27] op_sel:[0,1] op_sel_hi:[1,0]
	v_pk_add_f32 v[26:27], v[30:31], v[26:27] op_sel:[0,1] op_sel_hi:[1,0] neg_lo:[0,1] neg_hi:[0,1]
	v_mov_b32_e32 v21, v15
	v_mov_b32_e32 v35, v27
	v_pk_fma_f32 v[16:17], v[38:39], 2.0, v[20:21] op_sel_hi:[1,0,1] neg_lo:[0,0,1] neg_hi:[0,0,1]
	v_pk_fma_f32 v[30:31], v[32:33], 2.0, v[34:35] op_sel_hi:[1,0,1] neg_lo:[0,0,1] neg_hi:[0,0,1]
	;; [unrolled: 1-line block ×3, first 2 shown]
	v_pk_fma_f32 v[32:33], v[30:31], s[4:5], v[16:17] op_sel_hi:[1,0,1] neg_lo:[1,0,0] neg_hi:[1,0,0]
	v_pk_mul_f32 v[30:31], v[30:31], s[2:3] op_sel_hi:[1,0]
	v_fmamk_f32 v23, v42, 0xbf6c835e, v23
	v_pk_add_f32 v[38:39], v[32:33], v[30:31] op_sel:[0,1] op_sel_hi:[1,0]
	v_pk_add_f32 v[30:31], v[32:33], v[30:31] op_sel:[0,1] op_sel_hi:[1,0] neg_lo:[0,1] neg_hi:[0,1]
	v_fma_f32 v24, v40, 2.0, -v22
	v_mov_b32_e32 v39, v31
	v_pk_fma_f32 v[16:17], v[16:17], 2.0, v[38:39] op_sel_hi:[1,0,1] neg_lo:[0,0,1] neg_hi:[0,0,1]
	ds_write2_b64 v47, v[8:9], v[16:17] offset0:88 offset1:196
	v_pk_add_f32 v[8:9], v[28:29], v[10:11] op_sel:[0,1] op_sel_hi:[1,0]
	v_pk_add_f32 v[10:11], v[28:29], v[10:11] op_sel:[0,1] op_sel_hi:[1,0] neg_lo:[0,1] neg_hi:[0,1]
	v_fma_f32 v25, v25, 2.0, -v23
	v_mov_b32_e32 v9, v11
	v_pk_fma_f32 v[10:11], v[28:29], 2.0, v[8:9] op_sel_hi:[1,0,1] neg_lo:[0,0,1] neg_hi:[0,0,1]
	ds_write2_b64 v49, v[10:11], v[24:25] offset0:48 offset1:156
	v_pk_mul_f32 v[10:11], v[12:13], s[0:1] op_sel_hi:[1,0]
	v_pk_fma_f32 v[12:13], v[12:13], s[0:1], v[6:7] op_sel_hi:[1,0,1]
	v_fmamk_f32 v26, v34, 0x3f6c835e, v20
	v_fmamk_f32 v14, v27, 0x3f6c835e, v15
	v_pk_add_f32 v[16:17], v[12:13], v[10:11] op_sel:[0,1] op_sel_hi:[1,0]
	v_pk_add_f32 v[10:11], v[12:13], v[10:11] op_sel:[0,1] op_sel_hi:[1,0] neg_lo:[0,1] neg_hi:[0,1]
	v_fmac_f32_e32 v26, 0x3ec3ef15, v27
	v_fmamk_f32 v27, v34, 0xbec3ef15, v14
	v_mov_b32_e32 v17, v11
	v_fma_f32 v14, v20, 2.0, -v26
	v_fma_f32 v15, v15, 2.0, -v27
	v_pk_fma_f32 v[6:7], v[6:7], 2.0, v[16:17] op_sel_hi:[1,0,1] neg_lo:[0,0,1] neg_hi:[0,0,1]
	ds_write2_b64 v3, v[6:7], v[14:15] offset0:136 offset1:244
	ds_write2_b64 v51, v[36:37], v[44:45] offset0:96 offset1:204
	;; [unrolled: 1-line block ×5, first 2 shown]
	s_waitcnt lgkmcnt(0)
	s_barrier
	ds_read2_b64 v[6:9], v108 offset1:108
	v_mad_u64_u32 v[4:5], s[0:1], s11, v136, v[4:5]
	v_mov_b32_e32 v3, v4
	s_mov_b32 s0, 0xbda12f68
	s_waitcnt lgkmcnt(0)
	v_mul_f32_e32 v4, v145, v7
	v_fmac_f32_e32 v4, v144, v6
	v_cvt_f64_f32_e32 v[4:5], v4
	s_mov_b32 s1, 0x3f42f684
	v_mul_f64 v[4:5], v[4:5], s[0:1]
	v_cvt_f32_f64_e32 v10, v[4:5]
	v_mul_f32_e32 v4, v145, v6
	v_fma_f32 v4, v144, v7, -v4
	v_cvt_f64_f32_e32 v[4:5], v4
	v_mul_f64 v[4:5], v[4:5], s[0:1]
	v_mad_u64_u32 v[12:13], s[2:3], s8, v126, 0
	v_cvt_f32_f64_e32 v11, v[4:5]
	v_mov_b32_e32 v4, v13
	v_mad_u64_u32 v[14:15], s[2:3], s9, v126, v[4:5]
	ds_read2_b64 v[4:7], v49 offset0:48 offset1:192
	v_mov_b32_e32 v0, s12
	v_mov_b32_e32 v1, s13
	;; [unrolled: 1-line block ×3, first 2 shown]
	v_lshl_add_u64 v[14:15], v[2:3], 3, v[0:1]
	s_waitcnt lgkmcnt(0)
	v_mul_f32_e32 v0, v143, v7
	v_fmac_f32_e32 v0, v142, v6
	v_cvt_f64_f32_e32 v[0:1], v0
	v_lshl_add_u64 v[12:13], v[12:13], 3, v[14:15]
	v_mul_f64 v[0:1], v[0:1], s[0:1]
	global_store_dwordx2 v[12:13], v[10:11], off
	v_cvt_f32_f64_e32 v10, v[0:1]
	v_mul_f32_e32 v0, v143, v6
	v_fma_f32 v0, v142, v7, -v0
	v_cvt_f64_f32_e32 v[0:1], v0
	v_mul_f64 v[0:1], v[0:1], s[0:1]
	v_cvt_f32_f64_e32 v11, v[0:1]
	ds_read2_b64 v[0:3], v54 offset0:128 offset1:236
	s_mul_i32 s2, s9, 0x240
	s_mul_hi_u32 s3, s8, 0x240
	s_add_i32 s3, s3, s2
	s_mul_i32 s2, s8, 0x240
	s_lshl_b64 s[2:3], s[2:3], 3
	v_lshl_add_u64 v[6:7], v[12:13], 0, s[2:3]
	global_store_dwordx2 v[6:7], v[10:11], off
	s_waitcnt lgkmcnt(0)
	v_mul_f32_e32 v10, v141, v1
	v_fmac_f32_e32 v10, v140, v0
	v_mul_f32_e32 v0, v141, v0
	v_fma_f32 v0, v140, v1, -v0
	v_cvt_f64_f32_e32 v[10:11], v10
	v_cvt_f64_f32_e32 v[0:1], v0
	v_mul_f64 v[10:11], v[10:11], s[0:1]
	v_mul_f64 v[0:1], v[0:1], s[0:1]
	v_cvt_f32_f64_e32 v10, v[10:11]
	v_cvt_f32_f64_e32 v11, v[0:1]
	v_mad_u64_u32 v[0:1], s[4:5], s8, v109, 0
	v_mov_b32_e32 v12, v1
	v_mad_u64_u32 v[12:13], s[4:5], s9, v109, v[12:13]
	v_mov_b32_e32 v1, v12
	v_lshl_add_u64 v[0:1], v[0:1], 3, v[14:15]
	global_store_dwordx2 v[0:1], v[10:11], off
	v_mul_f32_e32 v0, v139, v9
	v_fmac_f32_e32 v0, v138, v8
	v_cvt_f64_f32_e32 v[0:1], v0
	v_mul_f64 v[0:1], v[0:1], s[0:1]
	v_cvt_f32_f64_e32 v0, v[0:1]
	v_mul_f32_e32 v1, v139, v8
	v_fma_f32 v1, v138, v9, -v1
	v_cvt_f64_f32_e32 v[8:9], v1
	v_mul_f64 v[8:9], v[8:9], s[0:1]
	v_cvt_f32_f64_e32 v1, v[8:9]
	v_mov_b32_e32 v8, 0xfffff160
	v_mad_u64_u32 v[10:11], s[4:5], s8, v8, v[6:7]
	v_add_u32_e32 v6, 0x1400, v108
	ds_read2_b64 v[6:9], v6 offset0:44 offset1:152
	s_mul_i32 s4, s9, 0xfffff160
	s_sub_i32 s4, s4, s8
	v_add_u32_e32 v11, s4, v11
	global_store_dwordx2 v[10:11], v[0:1], off
	s_waitcnt lgkmcnt(0)
	v_mul_f32_e32 v0, v133, v7
	v_fmac_f32_e32 v0, v132, v6
	v_cvt_f64_f32_e32 v[0:1], v0
	v_mul_f64 v[0:1], v[0:1], s[0:1]
	v_cvt_f32_f64_e32 v0, v[0:1]
	v_mul_f32_e32 v1, v133, v6
	v_fma_f32 v1, v132, v7, -v1
	v_cvt_f64_f32_e32 v[6:7], v1
	v_mul_f64 v[6:7], v[6:7], s[0:1]
	v_cvt_f32_f64_e32 v1, v[6:7]
	v_lshl_add_u64 v[6:7], v[10:11], 0, s[2:3]
	global_store_dwordx2 v[6:7], v[0:1], off
	v_mul_f32_e32 v0, v135, v3
	v_fmac_f32_e32 v0, v134, v2
	v_cvt_f64_f32_e32 v[0:1], v0
	v_mul_f64 v[0:1], v[0:1], s[0:1]
	v_cvt_f32_f64_e32 v10, v[0:1]
	v_mul_f32_e32 v0, v135, v2
	v_fma_f32 v0, v134, v3, -v0
	v_cvt_f64_f32_e32 v[12:13], v0
	ds_read2_b64 v[0:3], v47 offset0:88 offset1:196
	v_mul_f64 v[12:13], v[12:13], s[0:1]
	v_cvt_f32_f64_e32 v11, v[12:13]
	v_lshl_add_u64 v[6:7], v[6:7], 0, s[2:3]
	global_store_dwordx2 v[6:7], v[10:11], off
	s_waitcnt lgkmcnt(0)
	v_mul_f32_e32 v10, v131, v1
	v_fmac_f32_e32 v10, v130, v0
	v_mul_f32_e32 v0, v131, v0
	s_mul_hi_u32 s5, s8, 0xfffffbec
	v_fma_f32 v0, v130, v1, -v0
	s_mul_i32 s4, s9, 0xfffffbec
	s_sub_i32 s5, s5, s8
	v_cvt_f64_f32_e32 v[10:11], v10
	v_cvt_f64_f32_e32 v[0:1], v0
	s_add_i32 s5, s5, s4
	s_mul_i32 s4, s8, 0xfffffbec
	v_mul_f64 v[10:11], v[10:11], s[0:1]
	v_mul_f64 v[0:1], v[0:1], s[0:1]
	s_lshl_b64 s[8:9], s[4:5], 3
	v_cvt_f32_f64_e32 v10, v[10:11]
	v_cvt_f32_f64_e32 v11, v[0:1]
	v_lshl_add_u64 v[0:1], v[6:7], 0, s[8:9]
	v_mul_f32_e32 v6, v129, v9
	v_fmac_f32_e32 v6, v128, v8
	v_cvt_f64_f32_e32 v[6:7], v6
	v_mul_f64 v[6:7], v[6:7], s[0:1]
	global_store_dwordx2 v[0:1], v[10:11], off
	v_cvt_f32_f64_e32 v10, v[6:7]
	v_mul_f32_e32 v6, v129, v8
	v_fma_f32 v6, v128, v9, -v6
	v_cvt_f64_f32_e32 v[12:13], v6
	ds_read2_b64 v[6:9], v55 offset0:88 offset1:196
	v_mul_f64 v[12:13], v[12:13], s[0:1]
	v_cvt_f32_f64_e32 v11, v[12:13]
	v_lshl_add_u64 v[0:1], v[0:1], 0, s[2:3]
	global_store_dwordx2 v[0:1], v[10:11], off
	s_waitcnt lgkmcnt(0)
	v_mul_f32_e32 v10, v125, v7
	v_fmac_f32_e32 v10, v124, v6
	v_mul_f32_e32 v6, v125, v6
	v_fma_f32 v6, v124, v7, -v6
	v_cvt_f64_f32_e32 v[10:11], v10
	v_cvt_f64_f32_e32 v[6:7], v6
	v_mul_f64 v[10:11], v[10:11], s[0:1]
	v_mul_f64 v[6:7], v[6:7], s[0:1]
	v_cvt_f32_f64_e32 v10, v[10:11]
	v_cvt_f32_f64_e32 v11, v[6:7]
	v_lshl_add_u64 v[6:7], v[0:1], 0, s[2:3]
	v_mul_f32_e32 v0, v123, v3
	v_fmac_f32_e32 v0, v122, v2
	v_cvt_f64_f32_e32 v[0:1], v0
	v_mul_f64 v[0:1], v[0:1], s[0:1]
	global_store_dwordx2 v[6:7], v[10:11], off
	v_cvt_f32_f64_e32 v10, v[0:1]
	v_mul_f32_e32 v0, v123, v2
	v_fma_f32 v0, v122, v3, -v0
	v_cvt_f64_f32_e32 v[12:13], v0
	ds_read2_b64 v[0:3], v51 offset0:132 offset1:240
	v_mul_f64 v[12:13], v[12:13], s[0:1]
	v_cvt_f32_f64_e32 v11, v[12:13]
	v_lshl_add_u64 v[6:7], v[6:7], 0, s[8:9]
	global_store_dwordx2 v[6:7], v[10:11], off
	s_waitcnt lgkmcnt(0)
	v_mul_f32_e32 v10, v121, v1
	v_fmac_f32_e32 v10, v120, v0
	v_mul_f32_e32 v0, v121, v0
	v_fma_f32 v0, v120, v1, -v0
	v_cvt_f64_f32_e32 v[10:11], v10
	v_cvt_f64_f32_e32 v[0:1], v0
	v_mul_f64 v[10:11], v[10:11], s[0:1]
	v_mul_f64 v[0:1], v[0:1], s[0:1]
	v_cvt_f32_f64_e32 v10, v[10:11]
	v_cvt_f32_f64_e32 v11, v[0:1]
	v_lshl_add_u64 v[0:1], v[6:7], 0, s[2:3]
	v_mul_f32_e32 v6, v119, v9
	v_fmac_f32_e32 v6, v118, v8
	v_cvt_f64_f32_e32 v[6:7], v6
	v_mul_f64 v[6:7], v[6:7], s[0:1]
	v_cvt_f32_f64_e32 v6, v[6:7]
	v_mul_f32_e32 v7, v119, v8
	v_fma_f32 v7, v118, v9, -v7
	v_cvt_f64_f32_e32 v[8:9], v7
	v_mul_f64 v[8:9], v[8:9], s[0:1]
	global_store_dwordx2 v[0:1], v[10:11], off
	v_cvt_f32_f64_e32 v7, v[8:9]
	v_lshl_add_u64 v[0:1], v[0:1], 0, s[2:3]
	global_store_dwordx2 v[0:1], v[6:7], off
	v_mul_f32_e32 v6, v117, v5
	v_fmac_f32_e32 v6, v116, v4
	v_mul_f32_e32 v4, v117, v4
	v_fma_f32 v4, v116, v5, -v4
	v_cvt_f64_f32_e32 v[6:7], v6
	v_cvt_f64_f32_e32 v[4:5], v4
	v_mul_f64 v[6:7], v[6:7], s[0:1]
	v_mul_f64 v[4:5], v[4:5], s[0:1]
	v_cvt_f32_f64_e32 v6, v[6:7]
	v_cvt_f32_f64_e32 v7, v[4:5]
	v_lshl_add_u64 v[0:1], v[0:1], 0, s[8:9]
	global_store_dwordx2 v[0:1], v[6:7], off
	v_mul_f32_e32 v4, v115, v3
	ds_read_b64 v[6:7], v108 offset:12672
	v_fmac_f32_e32 v4, v114, v2
	v_mul_f32_e32 v2, v115, v2
	v_fma_f32 v2, v114, v3, -v2
	v_cvt_f64_f32_e32 v[4:5], v4
	v_cvt_f64_f32_e32 v[2:3], v2
	v_mul_f64 v[4:5], v[4:5], s[0:1]
	v_mul_f64 v[2:3], v[2:3], s[0:1]
	v_cvt_f32_f64_e32 v4, v[4:5]
	v_cvt_f32_f64_e32 v5, v[2:3]
	s_waitcnt lgkmcnt(0)
	v_mul_f32_e32 v2, v113, v7
	v_fmac_f32_e32 v2, v112, v6
	v_cvt_f64_f32_e32 v[2:3], v2
	v_mul_f64 v[2:3], v[2:3], s[0:1]
	v_cvt_f32_f64_e32 v2, v[2:3]
	v_mul_f32_e32 v3, v113, v6
	v_lshl_add_u64 v[0:1], v[0:1], 0, s[2:3]
	v_fma_f32 v3, v112, v7, -v3
	global_store_dwordx2 v[0:1], v[4:5], off
	v_cvt_f64_f32_e32 v[4:5], v3
	v_mul_f64 v[4:5], v[4:5], s[0:1]
	s_movk_i32 s10, 0x2000
	v_cvt_f32_f64_e32 v3, v[4:5]
	v_lshl_add_u64 v[0:1], v[0:1], 0, s[2:3]
	global_store_dwordx2 v[0:1], v[2:3], off
	s_and_b64 exec, exec, s[6:7]
	s_cbranch_execz .LBB0_33
; %bb.32:
	v_add_co_u32_e32 v2, vcc, 0x1000, v110
	v_lshl_add_u64 v[6:7], s[4:5], 3, v[0:1]
	s_nop 0
	v_addc_co_u32_e32 v3, vcc, 0, v111, vcc
	global_load_dwordx2 v[4:5], v[2:3], off offset:224
	v_add_u32_e32 v2, 0xe0, v108
	ds_read2st64_b64 v[0:3], v2 offset0:8 offset1:17
	v_add_co_u32_e32 v8, vcc, s10, v110
	s_movk_i32 s4, 0x3000
	s_nop 0
	v_addc_co_u32_e32 v9, vcc, 0, v111, vcc
	s_waitcnt vmcnt(0) lgkmcnt(0)
	v_mul_f32_e32 v10, v1, v5
	v_mul_f32_e32 v5, v0, v5
	v_fmac_f32_e32 v10, v0, v4
	v_fma_f32 v4, v4, v1, -v5
	v_cvt_f64_f32_e32 v[0:1], v10
	v_cvt_f64_f32_e32 v[4:5], v4
	v_mul_f64 v[0:1], v[0:1], s[0:1]
	v_mul_f64 v[4:5], v[4:5], s[0:1]
	v_cvt_f32_f64_e32 v0, v[0:1]
	v_cvt_f32_f64_e32 v1, v[4:5]
	global_store_dwordx2 v[6:7], v[0:1], off
	global_load_dwordx2 v[0:1], v[8:9], off offset:736
	v_lshl_add_u64 v[4:5], v[6:7], 0, s[2:3]
	v_add_co_u32_e32 v6, vcc, s4, v110
	s_waitcnt vmcnt(0)
	v_mul_f32_e32 v8, v3, v1
	v_mul_f32_e32 v1, v2, v1
	v_fmac_f32_e32 v8, v2, v0
	v_fma_f32 v2, v0, v3, -v1
	v_cvt_f64_f32_e32 v[0:1], v8
	v_cvt_f64_f32_e32 v[2:3], v2
	v_mul_f64 v[0:1], v[0:1], s[0:1]
	v_mul_f64 v[2:3], v[2:3], s[0:1]
	v_cvt_f32_f64_e32 v0, v[0:1]
	v_cvt_f32_f64_e32 v1, v[2:3]
	v_addc_co_u32_e32 v7, vcc, 0, v111, vcc
	global_store_dwordx2 v[4:5], v[0:1], off
	global_load_dwordx2 v[0:1], v[6:7], off offset:1248
	ds_read_b64 v[2:3], v108 offset:13536
	s_waitcnt vmcnt(0) lgkmcnt(0)
	v_mul_f32_e32 v6, v3, v1
	v_mul_f32_e32 v1, v2, v1
	v_fmac_f32_e32 v6, v2, v0
	v_fma_f32 v2, v0, v3, -v1
	v_cvt_f64_f32_e32 v[0:1], v6
	v_cvt_f64_f32_e32 v[2:3], v2
	v_mul_f64 v[0:1], v[0:1], s[0:1]
	v_mul_f64 v[2:3], v[2:3], s[0:1]
	v_cvt_f32_f64_e32 v0, v[0:1]
	v_cvt_f32_f64_e32 v1, v[2:3]
	v_lshl_add_u64 v[2:3], v[4:5], 0, s[2:3]
	global_store_dwordx2 v[2:3], v[0:1], off
.LBB0_33:
	s_endpgm
	.section	.rodata,"a",@progbits
	.p2align	6, 0x0
	.amdhsa_kernel bluestein_single_back_len1728_dim1_sp_op_CI_CI
		.amdhsa_group_segment_fixed_size 13824
		.amdhsa_private_segment_fixed_size 0
		.amdhsa_kernarg_size 104
		.amdhsa_user_sgpr_count 2
		.amdhsa_user_sgpr_dispatch_ptr 0
		.amdhsa_user_sgpr_queue_ptr 0
		.amdhsa_user_sgpr_kernarg_segment_ptr 1
		.amdhsa_user_sgpr_dispatch_id 0
		.amdhsa_user_sgpr_kernarg_preload_length 0
		.amdhsa_user_sgpr_kernarg_preload_offset 0
		.amdhsa_user_sgpr_private_segment_size 0
		.amdhsa_uses_dynamic_stack 0
		.amdhsa_enable_private_segment 0
		.amdhsa_system_sgpr_workgroup_id_x 1
		.amdhsa_system_sgpr_workgroup_id_y 0
		.amdhsa_system_sgpr_workgroup_id_z 0
		.amdhsa_system_sgpr_workgroup_info 0
		.amdhsa_system_vgpr_workitem_id 0
		.amdhsa_next_free_vgpr 236
		.amdhsa_next_free_sgpr 24
		.amdhsa_accum_offset 236
		.amdhsa_reserve_vcc 1
		.amdhsa_float_round_mode_32 0
		.amdhsa_float_round_mode_16_64 0
		.amdhsa_float_denorm_mode_32 3
		.amdhsa_float_denorm_mode_16_64 3
		.amdhsa_dx10_clamp 1
		.amdhsa_ieee_mode 1
		.amdhsa_fp16_overflow 0
		.amdhsa_tg_split 0
		.amdhsa_exception_fp_ieee_invalid_op 0
		.amdhsa_exception_fp_denorm_src 0
		.amdhsa_exception_fp_ieee_div_zero 0
		.amdhsa_exception_fp_ieee_overflow 0
		.amdhsa_exception_fp_ieee_underflow 0
		.amdhsa_exception_fp_ieee_inexact 0
		.amdhsa_exception_int_div_zero 0
	.end_amdhsa_kernel
	.text
.Lfunc_end0:
	.size	bluestein_single_back_len1728_dim1_sp_op_CI_CI, .Lfunc_end0-bluestein_single_back_len1728_dim1_sp_op_CI_CI
                                        ; -- End function
	.section	.AMDGPU.csdata,"",@progbits
; Kernel info:
; codeLenInByte = 15928
; NumSgprs: 30
; NumVgprs: 236
; NumAgprs: 0
; TotalNumVgprs: 236
; ScratchSize: 0
; MemoryBound: 0
; FloatMode: 240
; IeeeMode: 1
; LDSByteSize: 13824 bytes/workgroup (compile time only)
; SGPRBlocks: 3
; VGPRBlocks: 29
; NumSGPRsForWavesPerEU: 30
; NumVGPRsForWavesPerEU: 236
; AccumOffset: 236
; Occupancy: 2
; WaveLimiterHint : 1
; COMPUTE_PGM_RSRC2:SCRATCH_EN: 0
; COMPUTE_PGM_RSRC2:USER_SGPR: 2
; COMPUTE_PGM_RSRC2:TRAP_HANDLER: 0
; COMPUTE_PGM_RSRC2:TGID_X_EN: 1
; COMPUTE_PGM_RSRC2:TGID_Y_EN: 0
; COMPUTE_PGM_RSRC2:TGID_Z_EN: 0
; COMPUTE_PGM_RSRC2:TIDIG_COMP_CNT: 0
; COMPUTE_PGM_RSRC3_GFX90A:ACCUM_OFFSET: 58
; COMPUTE_PGM_RSRC3_GFX90A:TG_SPLIT: 0
	.text
	.p2alignl 6, 3212836864
	.fill 256, 4, 3212836864
	.type	__hip_cuid_a324a279e30f2499,@object ; @__hip_cuid_a324a279e30f2499
	.section	.bss,"aw",@nobits
	.globl	__hip_cuid_a324a279e30f2499
__hip_cuid_a324a279e30f2499:
	.byte	0                               ; 0x0
	.size	__hip_cuid_a324a279e30f2499, 1

	.ident	"AMD clang version 19.0.0git (https://github.com/RadeonOpenCompute/llvm-project roc-6.4.0 25133 c7fe45cf4b819c5991fe208aaa96edf142730f1d)"
	.section	".note.GNU-stack","",@progbits
	.addrsig
	.addrsig_sym __hip_cuid_a324a279e30f2499
	.amdgpu_metadata
---
amdhsa.kernels:
  - .agpr_count:     0
    .args:
      - .actual_access:  read_only
        .address_space:  global
        .offset:         0
        .size:           8
        .value_kind:     global_buffer
      - .actual_access:  read_only
        .address_space:  global
        .offset:         8
        .size:           8
        .value_kind:     global_buffer
      - .actual_access:  read_only
        .address_space:  global
        .offset:         16
        .size:           8
        .value_kind:     global_buffer
      - .actual_access:  read_only
        .address_space:  global
        .offset:         24
        .size:           8
        .value_kind:     global_buffer
      - .actual_access:  read_only
        .address_space:  global
        .offset:         32
        .size:           8
        .value_kind:     global_buffer
      - .offset:         40
        .size:           8
        .value_kind:     by_value
      - .address_space:  global
        .offset:         48
        .size:           8
        .value_kind:     global_buffer
      - .address_space:  global
        .offset:         56
        .size:           8
        .value_kind:     global_buffer
      - .address_space:  global
        .offset:         64
        .size:           8
        .value_kind:     global_buffer
      - .address_space:  global
        .offset:         72
        .size:           8
        .value_kind:     global_buffer
      - .offset:         80
        .size:           4
        .value_kind:     by_value
      - .address_space:  global
        .offset:         88
        .size:           8
        .value_kind:     global_buffer
      - .address_space:  global
        .offset:         96
        .size:           8
        .value_kind:     global_buffer
    .group_segment_fixed_size: 13824
    .kernarg_segment_align: 8
    .kernarg_segment_size: 104
    .language:       OpenCL C
    .language_version:
      - 2
      - 0
    .max_flat_workgroup_size: 108
    .name:           bluestein_single_back_len1728_dim1_sp_op_CI_CI
    .private_segment_fixed_size: 0
    .sgpr_count:     30
    .sgpr_spill_count: 0
    .symbol:         bluestein_single_back_len1728_dim1_sp_op_CI_CI.kd
    .uniform_work_group_size: 1
    .uses_dynamic_stack: false
    .vgpr_count:     236
    .vgpr_spill_count: 0
    .wavefront_size: 64
amdhsa.target:   amdgcn-amd-amdhsa--gfx950
amdhsa.version:
  - 1
  - 2
...

	.end_amdgpu_metadata
